;; amdgpu-corpus repo=ROCm/aiter kind=harvested arch=n/a opt=n/a

/root/src/amdgpu-assembly/repos/ROCm__aiter/hsa/gfx950/pa/pa_bf16_perblockFp8_blk1024_1tg_4w_qlen40_msk1_ps.co:	file format elf64-amdgpu

Disassembly of section .text:

0000000000002600 <_ZN5aiter45PA_A16W8_BLK1024_1TG_4W_40mx1_64nx4_MTP_PS_PBE>:
	s_and_b32 s1, s1, 0xffff                                   // 000000002600: 8601FF01 0000FFFF
	s_load_dwordx2 s[4:5], s[0:1], 0x0                         // 000000002608: C0060100 00000000
	s_load_dwordx2 s[8:9], s[0:1], 0x10                        // 000000002610: C0060200 00000010
	s_load_dwordx2 s[12:13], s[0:1], 0x20                      // 000000002618: C0060300 00000020
	s_load_dwordx2 s[16:17], s[0:1], 0x30                      // 000000002620: C0060400 00000030
	s_load_dwordx2 s[42:43], s[0:1], 0x40                      // 000000002628: C0060A80 00000040
	s_load_dwordx2 s[40:41], s[0:1], 0x50                      // 000000002630: C0060A00 00000050
	s_load_dwordx2 s[20:21], s[0:1], 0x60                      // 000000002638: C0060500 00000060
	s_load_dwordx2 s[24:25], s[0:1], 0x70                      // 000000002640: C0060600 00000070
	s_load_dword s46, s[0:1], 0x80                             // 000000002648: C0020B80 00000080
	s_load_dword s48, s[0:1], 0x90                             // 000000002650: C0020C00 00000090
	s_load_dword s49, s[0:1], 0xa0                             // 000000002658: C0020C40 000000A0
	s_load_dword s50, s[0:1], 0xb0                             // 000000002660: C0020C80 000000B0
	s_load_dword s51, s[0:1], 0xc0                             // 000000002668: C0020CC0 000000C0
	s_load_dword s52, s[0:1], 0xd0                             // 000000002670: C0020D00 000000D0
	s_load_dword s53, s[0:1], 0xe0                             // 000000002678: C0020D40 000000E0
	s_load_dwordx2 s[44:45], s[0:1], 0x100                     // 000000002680: C0060B00 00000100
	s_load_dwordx2 s[36:37], s[0:1], 0x110                     // 000000002688: C0060900 00000110
	s_load_dwordx2 s[38:39], s[0:1], 0x120                     // 000000002690: C0060980 00000120
	s_load_dwordx2 s[28:29], s[0:1], 0x130                     // 000000002698: C0060700 00000130
	s_load_dwordx2 s[32:33], s[0:1], 0x140                     // 0000000026A0: C0060800 00000140
	v_lshrrev_b32_e32 v1, 10, v0                               // 0000000026A8: 2002008A
	v_lshrrev_b32_e32 v2, 10, v1                               // 0000000026AC: 2004028A
	v_and_b32_e32 v2, 0x3ff, v2                                // 0000000026B0: 260404FF 000003FF
	v_and_b32_e32 v1, 0x3ff, v1                                // 0000000026B8: 260202FF 000003FF
	v_and_b32_e32 v0, 0x3ff, v0                                // 0000000026C0: 260000FF 000003FF
	v_lshrrev_b32_e32 v3, 6, v0                                // 0000000026C8: 20060086
	v_and_b32_e32 v0, 63, v0                                   // 0000000026CC: 260000BF
	s_mov_b32 s58, s2                                          // 0000000026D0: BEBA0002
	v_readfirstlane_b32 s57, v3                                // 0000000026D4: 7E720503
	s_mov_b32 s56, 0x7060302                                   // 0000000026D8: BEB800FF 07060302
	v_mov_b32_e32 v216, 0xffff0000                             // 0000000026E0: 7FB002FF FFFF0000
	v_mov_b32_e32 v217, 0x7fff0000                             // 0000000026E8: 7FB202FF 7FFF0000
	v_mov_b32_e32 v218, 0x7fff                                 // 0000000026F0: 7FB402FF 00007FFF
	s_cmp_lt_u32 s57, 2                                        // 0000000026F8: BF0A8239
	s_cselect_b32 s100, -1, 0                                  // 0000000026FC: 856480C1
	s_mov_b32 s0, 0xff00ff00                                   // 000000002700: BE8000FF FF00FF00
	s_mov_b32 s1, 0xff00ff00                                   // 000000002708: BE8100FF FF00FF00
	v_mov_b32_e32 v224, -1                                     // 000000002710: 7FC002C1
	v_mov_b32_dpp v224, v224 row_shl:8 row_mask:0xf bank_mask:0xf bound_ctrl:1// 000000002714: 7FC002FA FF0908E0
	v_mov_b32_e32 v225, 0xff800000                             // 00000000271C: 7FC202FF FF800000
	v_lshrrev_b32_e32 v168, 4, v0                              // 000000002724: 21500084
	v_and_b32_e32 v169, 15, v0                                 // 000000002728: 2752008F
	v_add_u32_e32 v170, 1, v168                                // 00000000272C: 69555081
	v_and_b32_e32 v212, 3, v170                                // 000000002730: 27A95483
	v_lshlrev_b32_e32 v212, 4, v212                            // 000000002734: 25A9A884
	v_add_u32_e32 v212, v169, v212                             // 000000002738: 69A9A9A9
	v_lshlrev_b32_e32 v212, 2, v212                            // 00000000273C: 25A9A882
	v_add_u32_e32 v170, 2, v168                                // 000000002740: 69555082
	v_and_b32_e32 v213, 3, v170                                // 000000002744: 27AB5483
	v_lshlrev_b32_e32 v213, 4, v213                            // 000000002748: 25ABAA84
	v_add_u32_e32 v213, v169, v213                             // 00000000274C: 69ABABA9
	v_lshlrev_b32_e32 v213, 2, v213                            // 000000002750: 25ABAA82
	v_add_u32_e32 v170, 3, v168                                // 000000002754: 69555083
	v_and_b32_e32 v214, 3, v170                                // 000000002758: 27AD5483
	v_lshlrev_b32_e32 v214, 4, v214                            // 00000000275C: 25ADAC84
	v_add_u32_e32 v214, v169, v214                             // 000000002760: 69ADADA9
	v_lshlrev_b32_e32 v214, 2, v214                            // 000000002764: 25ADAC82
	s_waitcnt lgkmcnt(0)                                       // 000000002768: BF8CC07F
	s_lshl_b32 s54, s58, 2                                     // 00000000276C: 8E36823A
	s_and_b32 s37, s37, 0xffff                                 // 000000002770: 8625FF25 0000FFFF
	s_load_dwordx2 s[80:81], s[36:37], s54                     // 000000002778: C0041412 00000036
	s_mul_i32 s54, s53, 0x100                                  // 000000002780: 9236FF35 00000100
	s_mul_i32 s67, s48, s54                                    // 000000002788: 92433630
	s_mul_i32 s66, s48, 4                                      // 00000000278C: 92428430
	s_mov_b32 s47, s46                                         // 000000002790: BEAF002E
	s_mov_b32 s10, 0x80000000                                  // 000000002794: BE8A00FF 80000000
	s_mov_b32 s11, 0x20000                                     // 00000000279C: BE8B00FF 00020000
	s_and_b32 s9, s9, 0xffff                                   // 0000000027A4: 8609FF09 0000FFFF
	s_or_b32 s9, s9, 0                                         // 0000000027AC: 87098009
	s_mov_b32 s84, s8                                          // 0000000027B0: BED40008
	s_mov_b32 s85, s9                                          // 0000000027B4: BED50009
	s_mov_b32 s6, 0x80000000                                   // 0000000027B8: BE8600FF 80000000
	s_mov_b32 s7, 0x20000                                      // 0000000027C0: BE8700FF 00020000
	s_and_b32 s5, s5, 0xffff                                   // 0000000027C8: 8605FF05 0000FFFF
	s_or_b32 s5, s5, 0                                         // 0000000027D0: 87058005
	s_mov_b32 s82, s4                                          // 0000000027D4: BED20004
	s_mov_b32 s83, s5                                          // 0000000027D8: BED30005
	s_mov_b32 s30, 0x80000000                                  // 0000000027DC: BE9E00FF 80000000
	s_mov_b32 s31, 0x20000                                     // 0000000027E4: BE9F00FF 00020000
	s_and_b32 s29, s29, 0xffff                                 // 0000000027EC: 861DFF1D 0000FFFF
	s_or_b32 s29, s29, 0                                       // 0000000027F4: 871D801D
	s_mov_b32 s94, s28                                         // 0000000027F8: BEDE001C
	s_mov_b32 s95, s29                                         // 0000000027FC: BEDF001D
	s_mov_b32 s34, 0x80000000                                  // 000000002800: BEA200FF 80000000
	s_mov_b32 s35, 0x20000                                     // 000000002808: BEA300FF 00020000
	s_and_b32 s33, s33, 0xffff                                 // 000000002810: 8621FF21 0000FFFF
	s_or_b32 s33, s33, 0                                       // 000000002818: 87218021
	s_mov_b32 s96, s32                                         // 00000000281C: BEE00020
	s_mov_b32 s97, s33                                         // 000000002820: BEE10021
	s_mov_b32 s14, 0x80000000                                  // 000000002824: BE8E00FF 80000000
	s_mov_b32 s15, 0x20000                                     // 00000000282C: BE8F00FF 00020000
	s_and_b32 s13, s13, 0xffff                                 // 000000002834: 860DFF0D 0000FFFF
	s_or_b32 s13, s13, 0                                       // 00000000283C: 870D800D
	s_mul_i32 s55, s57, 0x100                                  // 000000002840: 9237FF39 00000100
	s_add_u32 s86, s12, s55                                    // 000000002848: 8056370C
	s_addc_u32 s87, s13, 0                                     // 00000000284C: 8257800D
	s_mov_b32 s18, 0x80000000                                  // 000000002850: BE9200FF 80000000
	s_mov_b32 s19, 0x20000                                     // 000000002858: BE9300FF 00020000
	s_and_b32 s17, s17, 0xffff                                 // 000000002860: 8611FF11 0000FFFF
	s_or_b32 s17, s17, 0                                       // 000000002868: 87118011
	s_add_u32 s88, s16, s55                                    // 00000000286C: 80583710
	s_addc_u32 s89, s17, 0                                     // 000000002870: 82598011
	s_mov_b32 s22, 0x80000000                                  // 000000002874: BE9600FF 80000000
	s_mov_b32 s23, 0x20000                                     // 00000000287C: BE9700FF 00020000
	s_and_b32 s21, s21, 0xffff                                 // 000000002884: 8615FF15 0000FFFF
	s_or_b32 s21, s21, 0                                       // 00000000288C: 87158015
	s_add_u32 s90, s20, 0                                      // 000000002890: 805A8014
	s_addc_u32 s91, s21, 0                                     // 000000002894: 825B8015
	s_mov_b32 s26, 0x80000000                                  // 000000002898: BE9A00FF 80000000
	s_mov_b32 s27, 0x20000                                     // 0000000028A0: BE9B00FF 00020000
	s_and_b32 s25, s25, 0xffff                                 // 0000000028A8: 8619FF19 0000FFFF
	s_or_b32 s25, s25, 0                                       // 0000000028B0: 87198019
	s_add_u32 s92, s24, 0                                      // 0000000028B4: 805C8018
	s_addc_u32 s93, s25, 0                                     // 0000000028B8: 825D8019
	s_and_b32 s39, s39, 0xffff                                 // 0000000028BC: 8627FF27 0000FFFF
	s_and_b32 s41, s41, 0xffff                                 // 0000000028C4: 8629FF29 0000FFFF
	s_and_b32 s43, s43, 0xffff                                 // 0000000028CC: 862BFF2B 0000FFFF
	s_and_b32 s45, s45, 0xffff                                 // 0000000028D4: 862DFF2D 0000FFFF
	v_and_b32_e32 v180, 15, v0                                 // 0000000028DC: 2768008F
	v_lshlrev_b32_e32 v180, 4, v180                            // 0000000028E0: 25696884
	s_lshl_b32 s54, s57, 2                                     // 0000000028E4: 8E368239
	v_lshrrev_b32_e32 v172, 4, v0                              // 0000000028E8: 21580084
	v_add_u32_e32 v172, s54, v172                              // 0000000028EC: 69595836
	v_add_u32_e32 v173, 16, v172                               // 0000000028F0: 695B5890
	v_add_u32_e32 v174, 16, v173                               // 0000000028F4: 695D5A90
	v_cvt_f32_u32_e32 v168, s53                                // 0000000028F8: 7F500C35
	v_sub_i32 v176, 0, s53                                     // 0000000028FC: D29D00B0 00006A80
	v_rcp_iflag_f32_e32 v168, v168                             // 000000002904: 7F5047A8
	s_nop 0                                                    // 000000002908: BF800000
	v_mul_f32_e32 v168, 0x4f7ffffe, v168                       // 00000000290C: 0B5150FF 4F7FFFFE
	v_cvt_u32_f32_e32 v168, v168                               // 000000002914: 7F500FA8
	v_mul_lo_u32 v169, v176, v168                              // 000000002918: D28500A9 000351B0
	v_mul_hi_u32 v169, v168, v169                              // 000000002920: D28600A9 000353A8
	v_add_u32_e32 v168, v168, v169                             // 000000002928: 695153A8
	v_mul_hi_u32 v168, v172, v168                              // 00000000292C: D28600A8 000351AC
	v_mul_lo_u32 v169, v168, s53                               // 000000002934: D28500A9 00006BA8
	v_sub_u32_e32 v171, v172, v169                             // 00000000293C: 6B5753AC
	v_add_u32_e32 v170, 1, v168                                // 000000002940: 69555081
	v_cmp_le_u32_e32 vcc, s53, v171                            // 000000002944: 7D975635
	v_subrev_u32_e32 v169, s53, v171                           // 000000002948: 6D535635
	s_nop 0                                                    // 00000000294C: BF800000
	v_cndmask_b32_e32 v168, v168, v170, vcc                    // 000000002950: 015155A8
	v_cndmask_b32_e32 v171, v171, v169, vcc                    // 000000002954: 015753AB
	v_add_u32_e32 v169, 1, v168                                // 000000002958: 69535081
	v_cmp_le_u32_e32 vcc, s53, v171                            // 00000000295C: 7D975635
	s_nop 1                                                    // 000000002960: BF800001
	v_cndmask_b32_e32 v176, v168, v169, vcc                    // 000000002964: 016153A8
	v_mul_i32_i24_e32 v170, s53, v176                          // 000000002968: 0D556035
	v_sub_u32_e32 v170, v172, v170                             // 00000000296C: 6B5555AC
	v_mul_u32_u24_e32 v170, 0x100, v170                        // 000000002970: 115554FF 00000100
	v_mul_u32_u24_e32 v226, s49, v176                          // 000000002978: 11C56031
	v_add3_u32 v226, v170, v226, v180                          // 00000000297C: D1FF00E2 06D3C5AA
	v_mul_u32_u24_e32 v229, s67, v176                          // 000000002984: 11CB6043
	v_add3_u32 v229, v170, v229, v180                          // 000000002988: D1FF00E5 06D3CBAA
	v_cvt_f32_u32_e32 v168, s53                                // 000000002990: 7F500C35
	v_sub_i32 v176, 0, s53                                     // 000000002994: D29D00B0 00006A80
	v_rcp_iflag_f32_e32 v168, v168                             // 00000000299C: 7F5047A8
	s_nop 0                                                    // 0000000029A0: BF800000
	v_mul_f32_e32 v168, 0x4f7ffffe, v168                       // 0000000029A4: 0B5150FF 4F7FFFFE
	v_cvt_u32_f32_e32 v168, v168                               // 0000000029AC: 7F500FA8
	v_mul_lo_u32 v169, v176, v168                              // 0000000029B0: D28500A9 000351B0
	v_mul_hi_u32 v169, v168, v169                              // 0000000029B8: D28600A9 000353A8
	v_add_u32_e32 v168, v168, v169                             // 0000000029C0: 695153A8
	v_mul_hi_u32 v168, v173, v168                              // 0000000029C4: D28600A8 000351AD
	v_mul_lo_u32 v169, v168, s53                               // 0000000029CC: D28500A9 00006BA8
	v_sub_u32_e32 v171, v173, v169                             // 0000000029D4: 6B5753AD
	v_add_u32_e32 v170, 1, v168                                // 0000000029D8: 69555081
	v_cmp_le_u32_e32 vcc, s53, v171                            // 0000000029DC: 7D975635
	v_subrev_u32_e32 v169, s53, v171                           // 0000000029E0: 6D535635
	s_nop 0                                                    // 0000000029E4: BF800000
	v_cndmask_b32_e32 v168, v168, v170, vcc                    // 0000000029E8: 015155A8
	v_cndmask_b32_e32 v171, v171, v169, vcc                    // 0000000029EC: 015753AB
	v_add_u32_e32 v169, 1, v168                                // 0000000029F0: 69535081
	v_cmp_le_u32_e32 vcc, s53, v171                            // 0000000029F4: 7D975635
	s_nop 1                                                    // 0000000029F8: BF800001
	v_cndmask_b32_e32 v176, v168, v169, vcc                    // 0000000029FC: 016153A8
	v_mul_i32_i24_e32 v170, s53, v176                          // 000000002A00: 0D556035
	v_sub_u32_e32 v170, v173, v170                             // 000000002A04: 6B5555AD
	v_mul_u32_u24_e32 v170, 0x100, v170                        // 000000002A08: 115554FF 00000100
	v_mul_u32_u24_e32 v227, s49, v176                          // 000000002A10: 11C76031
	v_add3_u32 v227, v170, v227, v180                          // 000000002A14: D1FF00E3 06D3C7AA
	v_mul_u32_u24_e32 v230, s67, v176                          // 000000002A1C: 11CD6043
	v_add3_u32 v230, v170, v230, v180                          // 000000002A20: D1FF00E6 06D3CDAA
	v_cvt_f32_u32_e32 v168, s53                                // 000000002A28: 7F500C35
	v_sub_i32 v176, 0, s53                                     // 000000002A2C: D29D00B0 00006A80
	v_rcp_iflag_f32_e32 v168, v168                             // 000000002A34: 7F5047A8
	s_nop 0                                                    // 000000002A38: BF800000
	v_mul_f32_e32 v168, 0x4f7ffffe, v168                       // 000000002A3C: 0B5150FF 4F7FFFFE
	v_cvt_u32_f32_e32 v168, v168                               // 000000002A44: 7F500FA8
	v_mul_lo_u32 v169, v176, v168                              // 000000002A48: D28500A9 000351B0
	v_mul_hi_u32 v169, v168, v169                              // 000000002A50: D28600A9 000353A8
	v_add_u32_e32 v168, v168, v169                             // 000000002A58: 695153A8
	v_mul_hi_u32 v168, v174, v168                              // 000000002A5C: D28600A8 000351AE
	v_mul_lo_u32 v169, v168, s53                               // 000000002A64: D28500A9 00006BA8
	v_sub_u32_e32 v171, v174, v169                             // 000000002A6C: 6B5753AE
	v_add_u32_e32 v170, 1, v168                                // 000000002A70: 69555081
	v_cmp_le_u32_e32 vcc, s53, v171                            // 000000002A74: 7D975635
	v_subrev_u32_e32 v169, s53, v171                           // 000000002A78: 6D535635
	s_nop 0                                                    // 000000002A7C: BF800000
	v_cndmask_b32_e32 v168, v168, v170, vcc                    // 000000002A80: 015155A8
	v_cndmask_b32_e32 v171, v171, v169, vcc                    // 000000002A84: 015753AB
	v_add_u32_e32 v169, 1, v168                                // 000000002A88: 69535081
	v_cmp_le_u32_e32 vcc, s53, v171                            // 000000002A8C: 7D975635
	s_nop 1                                                    // 000000002A90: BF800001
	v_cndmask_b32_e32 v176, v168, v169, vcc                    // 000000002A94: 016153A8
	v_mul_i32_i24_e32 v170, s53, v176                          // 000000002A98: 0D556035
	v_sub_u32_e32 v170, v174, v170                             // 000000002A9C: 6B5555AE
	v_mul_u32_u24_e32 v170, 0x100, v170                        // 000000002AA0: 115554FF 00000100
	v_mul_u32_u24_e32 v228, s49, v176                          // 000000002AA8: 11C96031
	v_add3_u32 v228, v170, v228, v180                          // 000000002AAC: D1FF00E4 06D3C9AA
	v_mul_u32_u24_e32 v231, s67, v176                          // 000000002AB4: 11CF6043
	v_add3_u32 v231, v170, v231, v180                          // 000000002AB8: D1FF00E7 06D3CFAA
	s_lshl_b32 s54, s57, 6                                     // 000000002AC0: 8E368639
	v_lshrrev_b32_e32 v180, 4, v0                              // 000000002AC4: 21680084
	v_lshlrev_b32_e32 v180, 4, v180                            // 000000002AC8: 25696884
	v_add_u32_e32 v180, s54, v180                              // 000000002ACC: 69696836
	v_and_b32_e32 v172, 15, v0                                 // 000000002AD0: 2758008F
	v_add_u32_e64 v173, v172, 16                               // 000000002AD4: D13400AD 000121AC
	v_add_u32_e64 v174, v172, 32                               // 000000002ADC: D13400AE 000141AC
	s_mul_i32 s54, s48, s53                                    // 000000002AE4: 92363530
	s_lshl_b32 s54, s54, 2                                     // 000000002AE8: 8E368236
	s_mul_i32 s55, s54, 0x80                                   // 000000002AEC: 9237FF36 00000080
	v_cvt_f32_u32_e32 v168, s53                                // 000000002AF4: 7F500C35
	v_sub_i32 v176, 0, s53                                     // 000000002AF8: D29D00B0 00006A80
	v_rcp_iflag_f32_e32 v168, v168                             // 000000002B00: 7F5047A8
	s_nop 0                                                    // 000000002B04: BF800000
	v_mul_f32_e32 v168, 0x4f7ffffe, v168                       // 000000002B08: 0B5150FF 4F7FFFFE
	v_cvt_u32_f32_e32 v168, v168                               // 000000002B10: 7F500FA8
	v_mul_lo_u32 v169, v176, v168                              // 000000002B14: D28500A9 000351B0
	v_mul_hi_u32 v169, v168, v169                              // 000000002B1C: D28600A9 000353A8
	v_add_u32_e32 v168, v168, v169                             // 000000002B24: 695153A8
	v_mul_hi_u32 v168, v172, v168                              // 000000002B28: D28600A8 000351AC
	v_mul_lo_u32 v169, v168, s53                               // 000000002B30: D28500A9 00006BA8
	v_sub_u32_e32 v171, v172, v169                             // 000000002B38: 6B5753AC
	v_add_u32_e32 v170, 1, v168                                // 000000002B3C: 69555081
	v_cmp_le_u32_e32 vcc, s53, v171                            // 000000002B40: 7D975635
	v_subrev_u32_e32 v169, s53, v171                           // 000000002B44: 6D535635
	s_nop 0                                                    // 000000002B48: BF800000
	v_cndmask_b32_e32 v168, v168, v170, vcc                    // 000000002B4C: 015155A8
	v_cndmask_b32_e32 v171, v171, v169, vcc                    // 000000002B50: 015753AB
	v_add_u32_e32 v169, 1, v168                                // 000000002B54: 69535081
	v_cmp_le_u32_e32 vcc, s53, v171                            // 000000002B58: 7D975635
	s_nop 1                                                    // 000000002B5C: BF800001
	v_cndmask_b32_e32 v176, v168, v169, vcc                    // 000000002B60: 016153A8
	v_mul_i32_i24_e32 v170, s53, v176                          // 000000002B64: 0D556035
	v_sub_u32_e32 v170, v172, v170                             // 000000002B68: 6B5555AC
	v_lshlrev_b32_e32 v171, 2, v170                            // 000000002B6C: 25575482
	v_mul_u32_u24_e32 v240, s54, v176                          // 000000002B70: 11E16036
	v_add_u32_e32 v240, v171, v240                             // 000000002B74: 69E1E1AB
	v_mul_u32_u24_e32 v171, 0x200, v170                        // 000000002B78: 115754FF 00000200
	v_mul_u32_u24_e32 v243, s55, v176                          // 000000002B80: 11E76037
	v_add3_u32 v243, v171, v243, v180                          // 000000002B84: D1FF00F3 06D3E7AB
	v_cvt_f32_u32_e32 v168, s53                                // 000000002B8C: 7F500C35
	v_sub_i32 v176, 0, s53                                     // 000000002B90: D29D00B0 00006A80
	v_rcp_iflag_f32_e32 v168, v168                             // 000000002B98: 7F5047A8
	s_nop 0                                                    // 000000002B9C: BF800000
	v_mul_f32_e32 v168, 0x4f7ffffe, v168                       // 000000002BA0: 0B5150FF 4F7FFFFE
	v_cvt_u32_f32_e32 v168, v168                               // 000000002BA8: 7F500FA8
	v_mul_lo_u32 v169, v176, v168                              // 000000002BAC: D28500A9 000351B0
	v_mul_hi_u32 v169, v168, v169                              // 000000002BB4: D28600A9 000353A8
	v_add_u32_e32 v168, v168, v169                             // 000000002BBC: 695153A8
	v_mul_hi_u32 v168, v173, v168                              // 000000002BC0: D28600A8 000351AD
	v_mul_lo_u32 v169, v168, s53                               // 000000002BC8: D28500A9 00006BA8
	v_sub_u32_e32 v171, v173, v169                             // 000000002BD0: 6B5753AD
	v_add_u32_e32 v170, 1, v168                                // 000000002BD4: 69555081
	v_cmp_le_u32_e32 vcc, s53, v171                            // 000000002BD8: 7D975635
	v_subrev_u32_e32 v169, s53, v171                           // 000000002BDC: 6D535635
	s_nop 0                                                    // 000000002BE0: BF800000
	v_cndmask_b32_e32 v168, v168, v170, vcc                    // 000000002BE4: 015155A8
	v_cndmask_b32_e32 v171, v171, v169, vcc                    // 000000002BE8: 015753AB
	v_add_u32_e32 v169, 1, v168                                // 000000002BEC: 69535081
	v_cmp_le_u32_e32 vcc, s53, v171                            // 000000002BF0: 7D975635
	s_nop 1                                                    // 000000002BF4: BF800001
	v_cndmask_b32_e32 v176, v168, v169, vcc                    // 000000002BF8: 016153A8
	v_mul_i32_i24_e32 v170, s53, v176                          // 000000002BFC: 0D556035
	v_sub_u32_e32 v170, v173, v170                             // 000000002C00: 6B5555AD
	v_lshlrev_b32_e32 v171, 2, v170                            // 000000002C04: 25575482
	v_mul_u32_u24_e32 v241, s54, v176                          // 000000002C08: 11E36036
	v_add_u32_e32 v241, v171, v241                             // 000000002C0C: 69E3E3AB
	v_mul_u32_u24_e32 v171, 0x200, v170                        // 000000002C10: 115754FF 00000200
	v_mul_u32_u24_e32 v244, s55, v176                          // 000000002C18: 11E96037
	v_add3_u32 v244, v171, v244, v180                          // 000000002C1C: D1FF00F4 06D3E9AB
	v_cvt_f32_u32_e32 v168, s53                                // 000000002C24: 7F500C35
	v_sub_i32 v176, 0, s53                                     // 000000002C28: D29D00B0 00006A80
	v_rcp_iflag_f32_e32 v168, v168                             // 000000002C30: 7F5047A8
	s_nop 0                                                    // 000000002C34: BF800000
	v_mul_f32_e32 v168, 0x4f7ffffe, v168                       // 000000002C38: 0B5150FF 4F7FFFFE
	v_cvt_u32_f32_e32 v168, v168                               // 000000002C40: 7F500FA8
	v_mul_lo_u32 v169, v176, v168                              // 000000002C44: D28500A9 000351B0
	v_mul_hi_u32 v169, v168, v169                              // 000000002C4C: D28600A9 000353A8
	v_add_u32_e32 v168, v168, v169                             // 000000002C54: 695153A8
	v_mul_hi_u32 v168, v174, v168                              // 000000002C58: D28600A8 000351AE
	v_mul_lo_u32 v169, v168, s53                               // 000000002C60: D28500A9 00006BA8
	v_sub_u32_e32 v171, v174, v169                             // 000000002C68: 6B5753AE
	v_add_u32_e32 v170, 1, v168                                // 000000002C6C: 69555081
	v_cmp_le_u32_e32 vcc, s53, v171                            // 000000002C70: 7D975635
	v_subrev_u32_e32 v169, s53, v171                           // 000000002C74: 6D535635
	s_nop 0                                                    // 000000002C78: BF800000
	v_cndmask_b32_e32 v168, v168, v170, vcc                    // 000000002C7C: 015155A8
	v_cndmask_b32_e32 v171, v171, v169, vcc                    // 000000002C80: 015753AB
	v_add_u32_e32 v169, 1, v168                                // 000000002C84: 69535081
	v_cmp_le_u32_e32 vcc, s53, v171                            // 000000002C88: 7D975635
	s_nop 1                                                    // 000000002C8C: BF800001
	v_cndmask_b32_e32 v176, v168, v169, vcc                    // 000000002C90: 016153A8
	v_mul_i32_i24_e32 v170, s53, v176                          // 000000002C94: 0D556035
	v_sub_u32_e32 v170, v174, v170                             // 000000002C98: 6B5555AE
	v_lshlrev_b32_e32 v171, 2, v170                            // 000000002C9C: 25575482
	v_mul_u32_u24_e32 v242, s54, v176                          // 000000002CA0: 11E56036
	v_add_u32_e32 v242, v171, v242                             // 000000002CA4: 69E5E5AB
	v_mul_u32_u24_e32 v171, 0x200, v170                        // 000000002CA8: 115754FF 00000200
	v_mul_u32_u24_e32 v245, s55, v176                          // 000000002CB0: 11EB6037
	v_add3_u32 v245, v171, v245, v180                          // 000000002CB4: D1FF00F5 06D3EBAB
	s_mul_i32 s54, s57, 64                                     // 000000002CBC: 9236C039
	v_and_b32_e32 v168, 15, v0                                 // 000000002CC0: 2750008F
	v_mul_i32_i24_e32 v168, 0x100, v168                        // 000000002CC4: 0D5150FF 00000100
	v_lshrrev_b32_e32 v169, 4, v0                              // 000000002CCC: 21520084
	v_mul_i32_i24_e32 v169, 16, v169                           // 000000002CD0: 0D535290
	v_add3_u32 v246, v168, v169, s54                           // 000000002CD4: D1FF00F6 00DB53A8
	v_and_b32_e32 v248, 15, v0                                 // 000000002CDC: 27F0008F
	v_mul_i32_i24_e32 v248, 16, v248                           // 000000002CE0: 0DF1F090
	s_mul_i32 s54, s57, 0x240                                  // 000000002CE4: 9236FF39 00000240
	v_lshrrev_b32_e32 v168, 4, v0                              // 000000002CEC: 21500084
	v_lshlrev_b32_e32 v168, 7, v168                            // 000000002CF0: 25515087
	v_lshrrev_b32_e32 v169, 5, v0                              // 000000002CF4: 21520085
	v_lshlrev_b32_e32 v169, 5, v169                            // 000000002CF8: 25535285
	v_and_b32_e32 v170, 15, v0                                 // 000000002CFC: 2754008F
	v_lshlrev_b32_e32 v170, 3, v170                            // 000000002D00: 25555483
	v_add3_u32 v168, v168, v169, v170                          // 000000002D04: D1FF00A8 06AB53A8
	v_add_u32_e32 v247, s54, v168                              // 000000002D0C: 69EF5036
	v_and_b32_e32 v168, 15, v0                                 // 000000002D10: 2750008F
	v_lshlrev_b32_e32 v169, 7, v168                            // 000000002D14: 25535087
	v_lshrrev_b32_e32 v168, 1, v168                            // 000000002D18: 21515081
	v_lshlrev_b32_e32 v168, 5, v168                            // 000000002D1C: 25515085
	v_lshrrev_b32_e32 v170, 4, v0                              // 000000002D20: 21540084
	v_lshlrev_b32_e32 v170, 4, v170                            // 000000002D24: 25555484
	v_add3_u32 v249, v168, v169, v170                          // 000000002D28: D1FF00F9 06AB53A8
	s_mul_i32 s54, s57, 0x240                                  // 000000002D30: 9236FF39 00000240
	v_lshrrev_b32_e32 v168, 5, v0                              // 000000002D38: 21500085
	v_mul_i32_i24_e32 v168, 0x120, v168                        // 000000002D3C: 0D5150FF 00000120
	v_lshrrev_b32_e32 v169, 4, v0                              // 000000002D44: 21520084
	v_and_b32_e32 v169, 1, v169                                // 000000002D48: 27535281
	v_lshlrev_b32_e32 v169, 3, v169                            // 000000002D4C: 25535283
	v_and_b32_e32 v170, 15, v0                                 // 000000002D50: 2754008F
	v_lshlrev_b32_e32 v170, 4, v170                            // 000000002D54: 25555484
	v_add3_u32 v250, v168, v169, v170                          // 000000002D58: D1FF00FA 06AB53A8
	v_add_u32_e32 v250, s54, v250                              // 000000002D60: 69F5F436
	s_lshl_b32 s54, s57, 6                                     // 000000002D64: 8E368639
	v_lshrrev_b32_e32 v168, 4, v0                              // 000000002D68: 21500084
	v_lshlrev_b32_e32 v168, 4, v168                            // 000000002D6C: 25515084
	v_and_b32_e32 v169, 15, v0                                 // 000000002D70: 2752008F
	v_mul_i32_i24_e32 v169, 0x120, v169                        // 000000002D74: 0D5352FF 00000120
	v_add3_u32 v251, v168, v169, s54                           // 000000002D7C: D1FF00FB 00DB53A8
	v_lshrrev_b32_e32 v168, 4, v0                              // 000000002D84: 21500084
	v_and_b32_e32 v169, 15, v0                                 // 000000002D88: 2752008F
	v_lshlrev_b32_e32 v170, 4, v169                            // 000000002D8C: 25555284
	v_mul_i32_i24_e32 v232, 0x4000, v168                       // 000000002D90: 0DD150FF 00004000
	v_add_u32_e32 v232, v170, v232                             // 000000002D98: 69D1D1AA
	v_add_u32_e32 v233, 0x10000, v232                          // 000000002D9C: 69D3D0FF 00010000
	v_mul_i32_i24_e32 v234, 0x800, v168                        // 000000002DA4: 0DD550FF 00000800
	v_add_u32_e32 v234, v170, v234                             // 000000002DAC: 69D5D5AA
	v_add_u32_e32 v235, 0x2000, v234                           // 000000002DB0: 69D7D4FF 00002000
	v_add_u32_e32 v236, 0x2000, v235                           // 000000002DB8: 69D9D6FF 00002000
	v_add_u32_e32 v237, 0x2000, v236                           // 000000002DC0: 69DBD8FF 00002000
	v_mov_b32_e32 v238, 0                                      // 000000002DC8: 7FDC0280
	v_mov_b32_e32 v239, 0                                      // 000000002DCC: 7FDE0280
	s_lshl_b32 s54, s57, 4                                     // 000000002DD0: 8E368439
	v_lshrrev_b32_e32 v222, 4, v0                              // 000000002DD4: 21BC0084
	v_lshlrev_b32_e32 v222, 2, v222                            // 000000002DD8: 25BDBC82
	v_add_u32_e32 v222, s54, v222                              // 000000002DDC: 69BDBC36
	v_add_u32_e32 v168, 0x80, v222                             // 000000002DE0: 6951BCFF 00000080
	v_cndmask_b32_e64 v223, v222, v168, s[0:1]                 // 000000002DE8: D10000DF 000351DE
	s_lshl_b32 s54, s57, 6                                     // 000000002DF0: 8E368639
	v_lshrrev_b32_e32 v168, 4, v0                              // 000000002DF4: 21500084
	v_lshlrev_b32_e32 v168, 8, v168                            // 000000002DF8: 25515088
	v_and_b32_e32 v169, 15, v0                                 // 000000002DFC: 2752008F
	v_lshlrev_b32_e32 v169, 2, v169                            // 000000002E00: 25535282
	v_add3_u32 v252, s54, v168, v169                           // 000000002E04: D1FF00FC 06A75036
	v_lshlrev_b32_e32 v252, 2, v252                            // 000000002E0C: 25F9F882
	v_and_b32_e32 v253, 15, v0                                 // 000000002E10: 27FA008F
	v_lshlrev_b32_e32 v253, 4, v253                            // 000000002E14: 25FBFA84
	s_lshl_b32 s54, s57, 8                                     // 000000002E18: 8E368839
	v_and_b32_e32 v169, 15, v0                                 // 000000002E1C: 2752008F
	v_lshlrev_b32_e32 v169, 4, v169                            // 000000002E20: 25535284
	v_lshrrev_b32_e32 v170, 4, v0                              // 000000002E24: 21540084
	v_lshlrev_b32_e32 v170, 2, v170                            // 000000002E28: 25555482
	v_add3_u32 v254, v169, v170, s54                           // 000000002E2C: D1FF00FE 00DB55A9
	v_and_b32_e32 v168, 15, v0                                 // 000000002E34: 2750008F
	v_lshlrev_b32_e32 v168, 4, v168                            // 000000002E38: 25515084
	v_lshrrev_b32_e32 v169, 4, v0                              // 000000002E3C: 21520084
	v_lshlrev_b32_e32 v169, 8, v169                            // 000000002E40: 25535288
	v_add_u32_e32 v255, v168, v169                             // 000000002E44: 69FF53A8
	s_waitcnt lgkmcnt(0)                                       // 000000002E48: BF8CC07F

0000000000002e4c <label_0213>:
	s_cmp_lt_i32 s80, s81                                      // 000000002E4C: BF045150
	s_cbranch_scc0 label_3D33                                  // 000000002E50: BF843B1E
	s_lshl_b32 s54, s80, 5                                     // 000000002E54: 8E368550
	s_load_dwordx8 s[72:79], s[38:39], s54                     // 000000002E58: C00C1213 00000036
	v_mov_b32_e32 v194, 0xff7fffff                             // 000000002E60: 7F8402FF FF7FFFFF
	v_mov_b64_e32 v[200:201], 0                                // 000000002E68: 7F907080
	v_mov_b64_e32 v[206:207], 0                                // 000000002E6C: 7F9C7080
	v_mov_b64_e32 v[158:159], 0                                // 000000002E70: 7F3C7080
	v_mov_b32_e32 v195, 0xff7fffff                             // 000000002E74: 7F8602FF FF7FFFFF
	v_mov_b64_e32 v[202:203], 0                                // 000000002E7C: 7F947080
	v_mov_b64_e32 v[208:209], 0                                // 000000002E80: 7FA07080
	v_mov_b64_e32 v[160:161], 0                                // 000000002E84: 7F407080
	v_mov_b32_e32 v196, 0xff7fffff                             // 000000002E88: 7F8802FF FF7FFFFF
	v_mov_b64_e32 v[204:205], 0                                // 000000002E90: 7F987080
	v_mov_b64_e32 v[210:211], 0                                // 000000002E94: 7FA47080
	v_mov_b64_e32 v[162:163], 0                                // 000000002E98: 7F447080
	v_mov_b32_e32 v124, 0                                      // 000000002E9C: 7EF80280
	v_mov_b32_e32 v100, 0                                      // 000000002EA0: 7EC80280
	v_mov_b32_e32 v125, 0                                      // 000000002EA4: 7EFA0280
	v_mov_b32_e32 v101, 0                                      // 000000002EA8: 7ECA0280
	v_mov_b32_e32 v126, 0                                      // 000000002EAC: 7EFC0280
	v_mov_b32_e32 v102, 0                                      // 000000002EB0: 7ECC0280
	v_mov_b32_e32 v127, 0                                      // 000000002EB4: 7EFE0280
	v_mov_b32_e32 v103, 0                                      // 000000002EB8: 7ECE0280
	v_mov_b32_e32 v128, 0                                      // 000000002EBC: 7F000280
	v_mov_b32_e32 v104, 0                                      // 000000002EC0: 7ED00280
	v_mov_b32_e32 v129, 0                                      // 000000002EC4: 7F020280
	v_mov_b32_e32 v105, 0                                      // 000000002EC8: 7ED20280
	v_mov_b32_e32 v130, 0                                      // 000000002ECC: 7F040280
	v_mov_b32_e32 v106, 0                                      // 000000002ED0: 7ED40280
	v_mov_b32_e32 v131, 0                                      // 000000002ED4: 7F060280
	v_mov_b32_e32 v107, 0                                      // 000000002ED8: 7ED60280
	v_mov_b32_e32 v132, 0                                      // 000000002EDC: 7F080280
	v_mov_b32_e32 v108, 0                                      // 000000002EE0: 7ED80280
	v_mov_b32_e32 v133, 0                                      // 000000002EE4: 7F0A0280
	v_mov_b32_e32 v109, 0                                      // 000000002EE8: 7EDA0280
	v_mov_b32_e32 v134, 0                                      // 000000002EEC: 7F0C0280
	v_mov_b32_e32 v110, 0                                      // 000000002EF0: 7EDC0280
	v_mov_b32_e32 v135, 0                                      // 000000002EF4: 7F0E0280
	v_mov_b32_e32 v111, 0                                      // 000000002EF8: 7EDE0280
	v_mov_b32_e32 v136, 0                                      // 000000002EFC: 7F100280
	v_mov_b32_e32 v112, 0                                      // 000000002F00: 7EE00280
	v_mov_b32_e32 v137, 0                                      // 000000002F04: 7F120280
	v_mov_b32_e32 v113, 0                                      // 000000002F08: 7EE20280
	v_mov_b32_e32 v138, 0                                      // 000000002F0C: 7F140280
	v_mov_b32_e32 v114, 0                                      // 000000002F10: 7EE40280
	v_mov_b32_e32 v139, 0                                      // 000000002F14: 7F160280
	v_mov_b32_e32 v115, 0                                      // 000000002F18: 7EE60280
	v_mov_b32_e32 v140, 0                                      // 000000002F1C: 7F180280
	v_mov_b32_e32 v116, 0                                      // 000000002F20: 7EE80280
	v_mov_b32_e32 v141, 0                                      // 000000002F24: 7F1A0280
	v_mov_b32_e32 v117, 0                                      // 000000002F28: 7EEA0280
	v_mov_b32_e32 v142, 0                                      // 000000002F2C: 7F1C0280
	v_mov_b32_e32 v118, 0                                      // 000000002F30: 7EEC0280
	v_mov_b32_e32 v143, 0                                      // 000000002F34: 7F1E0280
	v_mov_b32_e32 v119, 0                                      // 000000002F38: 7EEE0280
	v_mov_b32_e32 v144, 0                                      // 000000002F3C: 7F200280
	v_mov_b32_e32 v120, 0                                      // 000000002F40: 7EF00280
	v_mov_b32_e32 v145, 0                                      // 000000002F44: 7F220280
	v_mov_b32_e32 v121, 0                                      // 000000002F48: 7EF20280
	v_mov_b32_e32 v146, 0                                      // 000000002F4C: 7F240280
	v_mov_b32_e32 v122, 0                                      // 000000002F50: 7EF40280
	v_mov_b32_e32 v147, 0                                      // 000000002F54: 7F260280
	v_mov_b32_e32 v123, 0                                      // 000000002F58: 7EF60280
	s_waitcnt lgkmcnt(0)                                       // 000000002F5C: BF8CC07F
	s_mul_i32 s64, s76, 0x400                                  // 000000002F60: 9240FF4C 00000400
	s_lshl_b32 s54, s72, 2                                     // 000000002F68: 8E368248
	s_load_dword s60, s[44:45], s54                            // 000000002F6C: C0000F16 00000036
	s_load_dword s61, s[40:41], s54                            // 000000002F74: C0000F54 00000036
	s_lshl_b32 s68, s76, 2                                     // 000000002F7C: 8E44824C
	s_cmp_lt_u32 s76, s77                                      // 000000002F80: BF0A4D4C
	s_cselect_b32 s68, s68, 0                                  // 000000002F84: 85448044
	s_addk_i32 s76, 0x1                                        // 000000002F88: B74C0001
	s_load_dword s59, s[42:43], s68                            // 000000002F8C: C0000ED5 00000044
	s_and_b32 s79, s79, 0xffff                                 // 000000002F94: 864FFF4F 0000FFFF
	v_cvt_f32_u32_e32 v168, s53                                // 000000002F9C: 7F500C35
	s_sub_i32 s78, 0, s53                                      // 000000002FA0: 81CE3580
	v_rcp_iflag_f32_e32 v168, v168                             // 000000002FA4: 7F5047A8
	s_nop 0                                                    // 000000002FA8: BF800000
	v_mul_f32_e32 v168, 0x4f7ffffe, v168                       // 000000002FAC: 0B5150FF 4F7FFFFE
	v_cvt_u32_f32_e32 v168, v168                               // 000000002FB4: 7F500FA8
	v_mul_lo_u32 v169, s78, v168                               // 000000002FB8: D28500A9 0003504E
	v_mul_hi_u32 v169, v168, v169                              // 000000002FC0: D28600A9 000353A8
	v_add_u32_e32 v168, v168, v169                             // 000000002FC8: 695153A8
	v_mul_hi_u32 v168, s79, v168                               // 000000002FCC: D28600A8 0003504F
	v_mul_lo_u32 v169, v168, s53                               // 000000002FD4: D28500A9 00006BA8
	v_sub_u32_e32 v171, s79, v169                              // 000000002FDC: 6B57524F
	v_add_u32_e32 v170, 1, v168                                // 000000002FE0: 69555081
	v_cmp_le_u32_e32 vcc, s53, v171                            // 000000002FE4: 7D975635
	v_subrev_u32_e32 v169, s53, v171                           // 000000002FE8: 6D535635
	s_nop 0                                                    // 000000002FEC: BF800000
	v_cndmask_b32_e32 v168, v168, v170, vcc                    // 000000002FF0: 015155A8
	v_cndmask_b32_e32 v171, v171, v169, vcc                    // 000000002FF4: 015753AB
	v_add_u32_e32 v169, 1, v168                                // 000000002FF8: 69535081
	v_cmp_le_u32_e32 vcc, s53, v171                            // 000000002FFC: 7D975635
	s_nop 1                                                    // 000000003000: BF800001
	v_cndmask_b32_e32 v171, v168, v169, vcc                    // 000000003004: 015753A8
	s_nop 3                                                    // 000000003008: BF800003
	v_readfirstlane_b32 s78, v171                              // 00000000300C: 7E9C05AB
	s_nop 3                                                    // 000000003010: BF800003
	s_mul_i32 s65, s53, 0x100                                  // 000000003014: 9241FF35 00000100
	s_add_u32 s54, s52, 1                                      // 00000000301C: 80368134
	s_mul_i32 s54, s49, s54                                    // 000000003020: 92363631
	s_mul_i32 s54, s72, s54                                    // 000000003024: 92363648
	s_mul_i32 s55, s78, s65                                    // 000000003028: 9237414E
	s_add_u32 s54, s54, s55                                    // 00000000302C: 80363736
	s_add_u32 s8, s84, s54                                     // 000000003030: 80083654
	s_addc_u32 s9, s85, 0                                      // 000000003034: 82098055
	s_mul_i32 s54, s52, s49                                    // 000000003038: 92363134
	s_add_u32 s10, s54, s65                                    // 00000000303C: 800A4136
	s_add_u32 s54, s52, 1                                      // 000000003040: 80368134
	s_mul_i32 s54, s54, s67                                    // 000000003044: 92364336
	s_mul_i32 s54, s54, s72                                    // 000000003048: 92364836
	s_mul_i32 s55, s78, s65                                    // 00000000304C: 9237414E
	s_add_u32 s54, s54, s55                                    // 000000003050: 80363736
	s_add_u32 s4, s82, s54                                     // 000000003054: 80043652
	s_addc_u32 s5, s83, 0                                      // 000000003058: 82058053
	s_mul_i32 s54, s52, s67                                    // 00000000305C: 92364334
	s_add_u32 s6, s54, s65                                     // 000000003060: 80064136
	s_mul_i32 s55, s53, 0x200                                  // 000000003064: 9237FF35 00000200
	s_mul_i32 s54, s73, s48                                    // 00000000306C: 92363049
	s_add_u32 s54, s54, s78                                    // 000000003070: 80364E36
	s_mul_i32 s54, s54, s55                                    // 000000003074: 92363736
	s_add_u32 s28, s94, s54                                    // 000000003078: 801C365E
	s_addc_u32 s29, s95, 0                                     // 00000000307C: 821D805F
	s_add_u32 s54, s52, 1                                      // 000000003080: 80368134
	s_mul_i32 s54, s54, s48                                    // 000000003084: 92363036
	s_mul_i32 s30, s54, s55                                    // 000000003088: 921E3736
	s_mul_i32 s55, s53, 4                                      // 00000000308C: 92378435
	s_mul_i32 s54, s73, s48                                    // 000000003090: 92363049
	s_add_u32 s54, s54, s78                                    // 000000003094: 80364E36
	s_mul_i32 s54, s54, s55                                    // 000000003098: 92363736
	s_add_u32 s32, s96, s54                                    // 00000000309C: 80203660
	s_addc_u32 s33, s97, 0                                     // 0000000030A0: 82218061
	s_add_u32 s54, s52, 1                                      // 0000000030A4: 80368134
	s_mul_i32 s54, s54, s48                                    // 0000000030A8: 92363036
	s_mul_i32 s34, s54, s55                                    // 0000000030AC: 92223736
	buffer_load_dwordx4 v[4:7], v226, s[8:11], 0 offen         // 0000000030B0: E05C1000 800204E2
	buffer_load_dwordx4 v[8:11], v227, s[8:11], 0 offen        // 0000000030B8: E05C1000 800208E3
	buffer_load_dwordx4 v[12:15], v228, s[8:11], 0 offen       // 0000000030C0: E05C1000 80020CE4
	s_waitcnt lgkmcnt(0)                                       // 0000000030C8: BF8CC07F
	s_mul_i32 s54, s60, 0x400                                  // 0000000030CC: 9236FF3C 00000400
	s_sub_i32 s64, s64, s54                                    // 0000000030D4: 81C03640
	s_mul_i32 s69, s59, s50                                    // 0000000030D8: 9245323B
	s_mul_i32 s71, s59, s66                                    // 0000000030DC: 9247423B
	s_mul_i32 s54, s78, s51                                    // 0000000030E0: 9236334E
	s_add_u32 s69, s69, s54                                    // 0000000030E4: 80453645
	s_mov_b32 s70, s69                                         // 0000000030E8: BEC60045
	s_mul_i32 s54, s78, 4                                      // 0000000030EC: 9236844E
	s_add_u32 s71, s71, s54                                    // 0000000030F0: 80473647
	s_add_u32 s12, s86, s69                                    // 0000000030F4: 800C4556
	s_addc_u32 s13, s87, 0                                     // 0000000030F8: 820D8057
	s_add_u32 s16, s88, s70                                    // 0000000030FC: 80104658
	s_addc_u32 s17, s89, 0                                     // 000000003100: 82118059
	s_add_u32 s20, s90, s71                                    // 000000003104: 8014475A
	s_addc_u32 s21, s91, 0                                     // 000000003108: 8215805B
	s_add_u32 s24, s92, s71                                    // 00000000310C: 8018475C
	s_addc_u32 s25, s93, 0                                     // 000000003110: 8219805D
	s_add_u32 s69, s69, 0x1000                                 // 000000003114: 8045FF45 00001000
	s_add_u32 s70, s70, 0x8000                                 // 00000000311C: 8046FF46 00008000
	buffer_load_dwordx4 a[24:27], v232, s[12:15], 0 offen      // 000000003124: E05C1000 808318E8
	buffer_load_dwordx4 a[28:31], v233, s[12:15], 0 offen      // 00000000312C: E05C1000 80831CE9
	buffer_load_dwordx4 a[32:35], v232, s[12:15], 0 offen offset:1024// 000000003134: E05C1400 808320E8
	buffer_load_dwordx4 a[36:39], v233, s[12:15], 0 offen offset:1024// 00000000313C: E05C1400 808324E9
	buffer_load_dwordx4 a[40:43], v232, s[12:15], 0 offen offset:2048// 000000003144: E05C1800 808328E8
	buffer_load_dwordx4 a[44:47], v233, s[12:15], 0 offen offset:2048// 00000000314C: E05C1800 80832CE9
	buffer_load_dwordx4 a[48:51], v232, s[12:15], 0 offen offset:3072// 000000003154: E05C1C00 808330E8
	buffer_load_dwordx4 a[52:55], v233, s[12:15], 0 offen offset:3072// 00000000315C: E05C1C00 808334E9
	buffer_load_dword v154, v238, s[20:23], 0 offen            // 000000003164: E0501000 80059AEE
	buffer_load_dword v156, v239, s[24:27], 0 offen            // 00000000316C: E0501000 80069CEF
	buffer_load_dwordx4 a[88:91], v234, s[16:19], 0 offen      // 000000003174: E05C1000 808458EA
	buffer_load_dwordx4 a[92:95], v235, s[16:19], 0 offen      // 00000000317C: E05C1000 80845CEB
	buffer_load_dwordx4 a[96:99], v236, s[16:19], 0 offen      // 000000003184: E05C1000 808460EC
	buffer_load_dwordx4 a[100:103], v237, s[16:19], 0 offen    // 00000000318C: E05C1000 808464ED
	buffer_load_dwordx4 a[104:107], v234, s[16:19], 0 offen offset:1024// 000000003194: E05C1400 808468EA
	buffer_load_dwordx4 a[108:111], v235, s[16:19], 0 offen offset:1024// 00000000319C: E05C1400 80846CEB
	buffer_load_dwordx4 a[112:115], v236, s[16:19], 0 offen offset:1024// 0000000031A4: E05C1400 808470EC
	buffer_load_dwordx4 a[116:119], v237, s[16:19], 0 offen offset:1024// 0000000031AC: E05C1400 808474ED
	s_sub_i32 s54, s77, s60                                    // 0000000031B4: 81B63C4D
	s_mul_i32 s62, s54, 0x400                                  // 0000000031B8: 923EFF36 00000400
	s_cmp_lt_i32 s62, s61                                      // 0000000031C0: BF043D3E
	s_cselect_b32 s62, s62, s61                                // 0000000031C4: 853E3D3E
	s_sub_i32 s54, s61, s52                                    // 0000000031C8: 81B6343D
	v_and_b32_e32 v172, 15, v0                                 // 0000000031CC: 2758008F
	v_add_u32_e32 v173, 16, v172                               // 0000000031D0: 695B5890
	v_and_b32_e32 v174, 7, v0                                  // 0000000031D4: 275C0087
	v_add_u32_e32 v174, 32, v174                               // 0000000031D8: 695D5CA0
	s_cmp_lt_i32 s62, s54                                      // 0000000031DC: BF04363E
	s_cselect_b32 s63, s62, s54                                // 0000000031E0: 853F363E
	s_and_b32 s63, s63, 0xffffff00                             // 0000000031E4: 863FFF3F FFFFFF00
	v_cvt_f32_u32_e32 v168, s53                                // 0000000031EC: 7F500C35
	v_sub_i32 v176, 0, s53                                     // 0000000031F0: D29D00B0 00006A80
	v_rcp_iflag_f32_e32 v168, v168                             // 0000000031F8: 7F5047A8
	s_nop 0                                                    // 0000000031FC: BF800000
	v_mul_f32_e32 v168, 0x4f7ffffe, v168                       // 000000003200: 0B5150FF 4F7FFFFE
	v_cvt_u32_f32_e32 v168, v168                               // 000000003208: 7F500FA8
	v_mul_lo_u32 v169, v176, v168                              // 00000000320C: D28500A9 000351B0
	v_mul_hi_u32 v169, v168, v169                              // 000000003214: D28600A9 000353A8
	v_add_u32_e32 v168, v168, v169                             // 00000000321C: 695153A8
	v_mul_hi_u32 v168, v172, v168                              // 000000003220: D28600A8 000351AC
	v_mul_lo_u32 v169, v168, s53                               // 000000003228: D28500A9 00006BA8
	v_sub_u32_e32 v171, v172, v169                             // 000000003230: 6B5753AC
	v_add_u32_e32 v170, 1, v168                                // 000000003234: 69555081
	v_cmp_le_u32_e32 vcc, s53, v171                            // 000000003238: 7D975635
	v_subrev_u32_e32 v169, s53, v171                           // 00000000323C: 6D535635
	s_nop 0                                                    // 000000003240: BF800000
	v_cndmask_b32_e32 v168, v168, v170, vcc                    // 000000003244: 015155A8
	v_cndmask_b32_e32 v171, v171, v169, vcc                    // 000000003248: 015753AB
	v_add_u32_e32 v169, 1, v168                                // 00000000324C: 69535081
	v_cmp_le_u32_e32 vcc, s53, v171                            // 000000003250: 7D975635
	s_nop 1                                                    // 000000003254: BF800001
	v_cndmask_b32_e32 v176, v168, v169, vcc                    // 000000003258: 016153A8
	v_add_u32_e32 v219, s54, v176                              // 00000000325C: 69B76036
	v_cmp_lt_u32_e32 vcc, s62, v219                            // 000000003260: 7D93B63E
	v_mov_b32_e32 v169, s62                                    // 000000003264: 7F52023E
	v_cndmask_b32_e32 v219, v219, v169, vcc                    // 000000003268: 01B753DB
	v_cvt_f32_u32_e32 v168, s53                                // 00000000326C: 7F500C35
	v_sub_i32 v176, 0, s53                                     // 000000003270: D29D00B0 00006A80
	v_rcp_iflag_f32_e32 v168, v168                             // 000000003278: 7F5047A8
	s_nop 0                                                    // 00000000327C: BF800000
	v_mul_f32_e32 v168, 0x4f7ffffe, v168                       // 000000003280: 0B5150FF 4F7FFFFE
	v_cvt_u32_f32_e32 v168, v168                               // 000000003288: 7F500FA8
	v_mul_lo_u32 v169, v176, v168                              // 00000000328C: D28500A9 000351B0
	v_mul_hi_u32 v169, v168, v169                              // 000000003294: D28600A9 000353A8
	v_add_u32_e32 v168, v168, v169                             // 00000000329C: 695153A8
	v_mul_hi_u32 v168, v173, v168                              // 0000000032A0: D28600A8 000351AD
	v_mul_lo_u32 v169, v168, s53                               // 0000000032A8: D28500A9 00006BA8
	v_sub_u32_e32 v171, v173, v169                             // 0000000032B0: 6B5753AD
	v_add_u32_e32 v170, 1, v168                                // 0000000032B4: 69555081
	v_cmp_le_u32_e32 vcc, s53, v171                            // 0000000032B8: 7D975635
	v_subrev_u32_e32 v169, s53, v171                           // 0000000032BC: 6D535635
	s_nop 0                                                    // 0000000032C0: BF800000
	v_cndmask_b32_e32 v168, v168, v170, vcc                    // 0000000032C4: 015155A8
	v_cndmask_b32_e32 v171, v171, v169, vcc                    // 0000000032C8: 015753AB
	v_add_u32_e32 v169, 1, v168                                // 0000000032CC: 69535081
	v_cmp_le_u32_e32 vcc, s53, v171                            // 0000000032D0: 7D975635
	s_nop 1                                                    // 0000000032D4: BF800001
	v_cndmask_b32_e32 v176, v168, v169, vcc                    // 0000000032D8: 016153A8
	v_add_u32_e32 v220, s54, v176                              // 0000000032DC: 69B96036
	v_cmp_lt_u32_e32 vcc, s62, v220                            // 0000000032E0: 7D93B83E
	v_mov_b32_e32 v169, s62                                    // 0000000032E4: 7F52023E
	v_cndmask_b32_e32 v220, v220, v169, vcc                    // 0000000032E8: 01B953DC
	v_cvt_f32_u32_e32 v168, s53                                // 0000000032EC: 7F500C35
	v_sub_i32 v176, 0, s53                                     // 0000000032F0: D29D00B0 00006A80
	v_rcp_iflag_f32_e32 v168, v168                             // 0000000032F8: 7F5047A8
	s_nop 0                                                    // 0000000032FC: BF800000
	v_mul_f32_e32 v168, 0x4f7ffffe, v168                       // 000000003300: 0B5150FF 4F7FFFFE
	v_cvt_u32_f32_e32 v168, v168                               // 000000003308: 7F500FA8
	v_mul_lo_u32 v169, v176, v168                              // 00000000330C: D28500A9 000351B0
	v_mul_hi_u32 v169, v168, v169                              // 000000003314: D28600A9 000353A8
	v_add_u32_e32 v168, v168, v169                             // 00000000331C: 695153A8
	v_mul_hi_u32 v168, v174, v168                              // 000000003320: D28600A8 000351AE
	v_mul_lo_u32 v169, v168, s53                               // 000000003328: D28500A9 00006BA8
	v_sub_u32_e32 v171, v174, v169                             // 000000003330: 6B5753AE
	v_add_u32_e32 v170, 1, v168                                // 000000003334: 69555081
	v_cmp_le_u32_e32 vcc, s53, v171                            // 000000003338: 7D975635
	v_subrev_u32_e32 v169, s53, v171                           // 00000000333C: 6D535635
	s_nop 0                                                    // 000000003340: BF800000
	v_cndmask_b32_e32 v168, v168, v170, vcc                    // 000000003344: 015155A8
	v_cndmask_b32_e32 v171, v171, v169, vcc                    // 000000003348: 015753AB
	v_add_u32_e32 v169, 1, v168                                // 00000000334C: 69535081
	v_cmp_le_u32_e32 vcc, s53, v171                            // 000000003350: 7D975635
	s_nop 1                                                    // 000000003354: BF800001
	v_cndmask_b32_e32 v176, v168, v169, vcc                    // 000000003358: 016153A8
	v_add_u32_e32 v221, s54, v176                              // 00000000335C: 69BB6036
	v_cmp_lt_u32_e32 vcc, s62, v221                            // 000000003360: 7D93BA3E
	v_mov_b32_e32 v169, s62                                    // 000000003364: 7F52023E
	v_cndmask_b32_e32 v221, v221, v169, vcc                    // 000000003368: 01BB53DD
	s_waitcnt vmcnt(18)                                        // 00000000336C: BF8C4F72
	v_lshlrev_b32_e32 v16, 16, v4                              // 000000003370: 24200890
	v_and_b32_e32 v17, 0xffff0000, v4                          // 000000003374: 262208FF FFFF0000
	v_lshlrev_b32_e32 v18, 16, v5                              // 00000000337C: 24240A90
	v_and_b32_e32 v19, 0xffff0000, v5                          // 000000003380: 26260AFF FFFF0000
	v_lshlrev_b32_e32 v20, 16, v6                              // 000000003388: 24280C90
	v_and_b32_e32 v21, 0xffff0000, v6                          // 00000000338C: 262A0CFF FFFF0000
	v_lshlrev_b32_e32 v22, 16, v7                              // 000000003394: 242C0E90
	v_and_b32_e32 v23, 0xffff0000, v7                          // 000000003398: 262E0EFF FFFF0000
	v_lshlrev_b32_e32 v24, 16, v8                              // 0000000033A0: 24301090
	v_and_b32_e32 v25, 0xffff0000, v8                          // 0000000033A4: 263210FF FFFF0000
	v_lshlrev_b32_e32 v26, 16, v9                              // 0000000033AC: 24341290
	v_and_b32_e32 v27, 0xffff0000, v9                          // 0000000033B0: 263612FF FFFF0000
	v_lshlrev_b32_e32 v28, 16, v10                             // 0000000033B8: 24381490
	v_and_b32_e32 v29, 0xffff0000, v10                         // 0000000033BC: 263A14FF FFFF0000
	v_lshlrev_b32_e32 v30, 16, v11                             // 0000000033C4: 243C1690
	v_and_b32_e32 v31, 0xffff0000, v11                         // 0000000033C8: 263E16FF FFFF0000
	v_lshlrev_b32_e32 v32, 16, v12                             // 0000000033D0: 24401890
	v_and_b32_e32 v33, 0xffff0000, v12                         // 0000000033D4: 264218FF FFFF0000
	v_lshlrev_b32_e32 v34, 16, v13                             // 0000000033DC: 24441A90
	v_and_b32_e32 v35, 0xffff0000, v13                         // 0000000033E0: 26461AFF FFFF0000
	v_lshlrev_b32_e32 v36, 16, v14                             // 0000000033E8: 24481C90
	v_and_b32_e32 v37, 0xffff0000, v14                         // 0000000033EC: 264A1CFF FFFF0000
	v_lshlrev_b32_e32 v38, 16, v15                             // 0000000033F4: 244C1E90
	v_and_b32_e32 v39, 0xffff0000, v15                         // 0000000033F8: 264E1EFF FFFF0000
	v_mov_b32_e32 v188, 0x358637bd                             // 000000003400: 7F7802FF 358637BD
	v_max3_f32 v188, |v16|, |v17|, v188                        // 000000003408: D1D303BC 06F22310
	v_max3_f32 v188, |v18|, |v19|, v188                        // 000000003410: D1D303BC 06F22712
	v_max3_f32 v188, |v20|, |v21|, v188                        // 000000003418: D1D303BC 06F22B14
	v_max3_f32 v188, |v22|, |v23|, v188                        // 000000003420: D1D303BC 06F22F16
	v_mov_b32_e32 v189, 0x358637bd                             // 000000003428: 7F7A02FF 358637BD
	v_max3_f32 v189, |v24|, |v25|, v189                        // 000000003430: D1D303BD 06F63318
	v_max3_f32 v189, |v26|, |v27|, v189                        // 000000003438: D1D303BD 06F6371A
	v_max3_f32 v189, |v28|, |v29|, v189                        // 000000003440: D1D303BD 06F63B1C
	v_max3_f32 v189, |v30|, |v31|, v189                        // 000000003448: D1D303BD 06F63F1E
	v_mov_b32_e32 v190, 0x358637bd                             // 000000003450: 7F7C02FF 358637BD
	v_max3_f32 v190, |v32|, |v33|, v190                        // 000000003458: D1D303BE 06FA4320
	v_max3_f32 v190, |v34|, |v35|, v190                        // 000000003460: D1D303BE 06FA4722
	v_max3_f32 v190, |v36|, |v37|, v190                        // 000000003468: D1D303BE 06FA4B24
	v_max3_f32 v190, |v38|, |v39|, v190                        // 000000003470: D1D303BE 06FA4F26
	v_max_f32_dpp v188, v188, v188 row_shl:8 row_mask:0xf bank_mask:0xf bound_ctrl:1// 000000003478: 177978FA FF0908BC
	v_max_f32_dpp v189, v189, v189 row_shl:8 row_mask:0xf bank_mask:0xf bound_ctrl:1// 000000003480: 177B7AFA FF0908BD
	v_max_f32_dpp v190, v190, v190 row_shl:8 row_mask:0xf bank_mask:0xf bound_ctrl:1// 000000003488: 177D7CFA FF0908BE
	v_max_f32_dpp v188, v188, v188 row_shl:4 row_mask:0xf bank_mask:0xf bound_ctrl:1// 000000003490: 177978FA FF0904BC
	v_max_f32_dpp v189, v189, v189 row_shl:4 row_mask:0xf bank_mask:0xf bound_ctrl:1// 000000003498: 177B7AFA FF0904BD
	v_max_f32_dpp v190, v190, v190 row_shl:4 row_mask:0xf bank_mask:0xf bound_ctrl:1// 0000000034A0: 177D7CFA FF0904BE
	v_max_f32_dpp v188, v188, v188 row_shl:2 row_mask:0xf bank_mask:0xf bound_ctrl:1// 0000000034A8: 177978FA FF0902BC
	v_max_f32_dpp v189, v189, v189 row_shl:2 row_mask:0xf bank_mask:0xf bound_ctrl:1// 0000000034B0: 177B7AFA FF0902BD
	v_max_f32_dpp v190, v190, v190 row_shl:2 row_mask:0xf bank_mask:0xf bound_ctrl:1// 0000000034B8: 177D7CFA FF0902BE
	v_max_f32_dpp v188, v188, v188 row_shl:1 row_mask:0xf bank_mask:0xf bound_ctrl:1// 0000000034C0: 177978FA FF0901BC
	v_max_f32_dpp v189, v189, v189 row_shl:1 row_mask:0xf bank_mask:0xf bound_ctrl:1// 0000000034C8: 177B7AFA FF0901BD
	v_max_f32_dpp v190, v190, v190 row_shl:1 row_mask:0xf bank_mask:0xf bound_ctrl:1// 0000000034D0: 177D7CFA FF0901BE
	ds_write_b128 v246, v[188:191] offset:4096                 // 0000000034D8: D9BE1000 0000BCF6
	s_waitcnt lgkmcnt(0)                                       // 0000000034E0: BF8CC07F
	s_barrier                                                  // 0000000034E4: BF8A0000
	ds_read_b128 v[188:191], v248 offset:4096                  // 0000000034E8: D9FE1000 BC0000F8
	s_waitcnt lgkmcnt(0)                                       // 0000000034F0: BF8CC07F
	v_rcp_f32_e32 v188, v188                                   // 0000000034F4: 7F7845BC
	v_rcp_f32_e32 v189, v189                                   // 0000000034F8: 7F7A45BD
	v_rcp_f32_e32 v190, v190                                   // 0000000034FC: 7F7C45BE
	v_mul_f32_e32 v188, 0x43700000, v188                       // 000000003500: 0B7978FF 43700000
	v_mul_f32_e32 v189, 0x43700000, v189                       // 000000003508: 0B7B7AFF 43700000
	v_mul_f32_e32 v190, 0x43700000, v190                       // 000000003510: 0B7D7CFF 43700000
	s_lshl_b32 s54, s57, 2                                     // 000000003518: 8E368239
	v_lshrrev_b32_e32 v171, 4, v0                              // 00000000351C: 21560084
	v_add_u32_e32 v171, s54, v171                              // 000000003520: 69575636
	v_lshlrev_b32_e32 v171, 2, v171                            // 000000003524: 25575682
	ds_bpermute_b32 v168, v171, v188                           // 000000003528: D87E0000 A800BCAB
	ds_bpermute_b32 v169, v171, v189                           // 000000003530: D87E0000 A900BDAB
	ds_bpermute_b32 v170, v171, v190                           // 000000003538: D87E0000 AA00BEAB
	v_mov_b32_dpp v172, v190 row_shr:8 row_mask:0xf bank_mask:0xf// 000000003540: 7F5802FA FF0118BE
	v_cndmask_b32_e64 v190, v190, v172, s[0:1]                 // 000000003548: D10000BE 000359BE
	v_rcp_f32_e32 v148, v188                                   // 000000003550: 7F2845BC
	v_rcp_f32_e32 v150, v189                                   // 000000003554: 7F2C45BD
	v_rcp_f32_e32 v152, v190                                   // 000000003558: 7F3045BE
	v_mov_b32_e32 v149, v148                                   // 00000000355C: 7F2A0394
	v_mov_b32_e32 v151, v150                                   // 000000003560: 7F2E0396
	v_mov_b32_e32 v153, v152                                   // 000000003564: 7F320398
	s_waitcnt lgkmcnt(0)                                       // 000000003568: BF8CC07F
	v_mul_f32_e32 v16, v16, v168                               // 00000000356C: 0A215110
	v_mul_f32_e32 v17, v17, v168                               // 000000003570: 0A235111
	v_mul_f32_e32 v18, v18, v168                               // 000000003574: 0A255112
	v_mul_f32_e32 v19, v19, v168                               // 000000003578: 0A275113
	v_mul_f32_e32 v20, v20, v168                               // 00000000357C: 0A295114
	v_mul_f32_e32 v21, v21, v168                               // 000000003580: 0A2B5115
	v_mul_f32_e32 v22, v22, v168                               // 000000003584: 0A2D5116
	v_mul_f32_e32 v23, v23, v168                               // 000000003588: 0A2F5117
	v_mul_f32_e32 v24, v24, v169                               // 00000000358C: 0A315318
	v_mul_f32_e32 v25, v25, v169                               // 000000003590: 0A335319
	v_mul_f32_e32 v26, v26, v169                               // 000000003594: 0A35531A
	v_mul_f32_e32 v27, v27, v169                               // 000000003598: 0A37531B
	v_mul_f32_e32 v28, v28, v169                               // 00000000359C: 0A39531C
	v_mul_f32_e32 v29, v29, v169                               // 0000000035A0: 0A3B531D
	v_mul_f32_e32 v30, v30, v169                               // 0000000035A4: 0A3D531E
	v_mul_f32_e32 v31, v31, v169                               // 0000000035A8: 0A3F531F
	v_mul_f32_e32 v32, v32, v170                               // 0000000035AC: 0A415520
	v_mul_f32_e32 v33, v33, v170                               // 0000000035B0: 0A435521
	v_mul_f32_e32 v34, v34, v170                               // 0000000035B4: 0A455522
	v_mul_f32_e32 v35, v35, v170                               // 0000000035B8: 0A475523
	v_mul_f32_e32 v36, v36, v170                               // 0000000035BC: 0A495524
	v_mul_f32_e32 v37, v37, v170                               // 0000000035C0: 0A4B5525
	v_mul_f32_e32 v38, v38, v170                               // 0000000035C4: 0A4D5526
	v_mul_f32_e32 v39, v39, v170                               // 0000000035C8: 0A4F5527
	v_cvt_pk_fp8_f32 v16, v16, v17                             // 0000000035CC: D2A20010 00022310
	v_cvt_pk_fp8_f32 v16, v18, v19 op_sel:[0,0,1]              // 0000000035D4: D2A24010 00022712
	v_cvt_pk_fp8_f32 v17, v20, v21                             // 0000000035DC: D2A20011 00022B14
	v_cvt_pk_fp8_f32 v17, v22, v23 op_sel:[0,0,1]              // 0000000035E4: D2A24011 00022F16
	v_cvt_pk_fp8_f32 v18, v24, v25                             // 0000000035EC: D2A20012 00023318
	v_cvt_pk_fp8_f32 v18, v26, v27 op_sel:[0,0,1]              // 0000000035F4: D2A24012 0002371A
	v_cvt_pk_fp8_f32 v19, v28, v29                             // 0000000035FC: D2A20013 00023B1C
	v_cvt_pk_fp8_f32 v19, v30, v31 op_sel:[0,0,1]              // 000000003604: D2A24013 00023F1E
	v_cvt_pk_fp8_f32 v20, v32, v33                             // 00000000360C: D2A20014 00024320
	v_cvt_pk_fp8_f32 v20, v34, v35 op_sel:[0,0,1]              // 000000003614: D2A24014 00024722
	v_cvt_pk_fp8_f32 v21, v36, v37                             // 00000000361C: D2A20015 00024B24
	v_cvt_pk_fp8_f32 v21, v38, v39 op_sel:[0,0,1]              // 000000003624: D2A24015 00024F26
	v_and_b32_e32 v20, s100, v20                               // 00000000362C: 26282864
	v_and_b32_e32 v21, s100, v21                               // 000000003630: 262A2A64
	ds_write_b64 v247, v[16:17] offset:8192                    // 000000003634: D89A2000 000010F7
	ds_write_b64 v247, v[18:19] offset:10496                   // 00000000363C: D89A2900 000012F7
	ds_write_b64 v247, v[20:21] offset:12800                   // 000000003644: D89A3200 000014F7
	s_waitcnt lgkmcnt(0)                                       // 00000000364C: BF8CC07F
	s_barrier                                                  // 000000003650: BF8A0000
	ds_read_b128 a[0:3], v249 offset:8192                      // 000000003654: DBFE2000 000000F9
	ds_read_b128 a[4:7], v249 offset:8256                      // 00000000365C: DBFE2040 040000F9
	ds_read_b128 a[8:11], v249 offset:10496                    // 000000003664: DBFE2900 080000F9
	ds_read_b128 a[12:15], v249 offset:10560                   // 00000000366C: DBFE2940 0C0000F9
	ds_read_b128 a[16:19], v249 offset:12800                   // 000000003674: DBFE3200 100000F9
	ds_read_b128 a[20:23], v249 offset:12864                   // 00000000367C: DBFE3240 140000F9
	s_waitcnt lgkmcnt(0)                                       // 000000003684: BF8CC07F
	s_cmp_lt_i32 s57, 2                                        // 000000003688: BF048239
	s_cbranch_scc0 label_126A                                  // 00000000368C: BF840E46

0000000000003690 <label_0424>:
	s_cmp_lt_i32 s64, s63                                      // 000000003690: BF043F40
	s_cbranch_scc0 label_20B0                                  // 000000003694: BF841C8A
	s_waitcnt vmcnt(10)                                        // 000000003698: BF8C0F7A
	v_mfma_f32_16x16x32_fp8_fp8 v[4:7], a[24:25], a[0:1], 0    // 00000000369C: D3F30004 1A020118
	s_add_u32 s12, s86, s69                                    // 0000000036A4: 800C4556
	s_addc_u32 s13, s87, 0                                     // 0000000036A8: 820D8057
	v_mfma_f32_16x16x32_fp8_fp8 v[4:7], a[26:27], a[2:3], v[4:7]// 0000000036AC: D3F30004 1C12051A
	s_add_u32 s16, s88, s70                                    // 0000000036B4: 80104658
	s_addc_u32 s17, s89, 0                                     // 0000000036B8: 82118059
	v_mfma_f32_16x16x32_fp8_fp8 v[4:7], a[28:29], a[4:5], v[4:7]// 0000000036BC: D3F30004 1C12091C
	buffer_load_dwordx4 a[56:59], v232, s[12:15], 0 offen      // 0000000036C4: E05C1000 808338E8
	v_mfma_f32_16x16x32_fp8_fp8 v[4:7], a[30:31], a[6:7], v[4:7]// 0000000036CC: D3F30004 1C120D1E
	s_add_u32 s20, s90, s71                                    // 0000000036D4: 8014475A
	s_addc_u32 s21, s91, 0                                     // 0000000036D8: 8215805B
	v_mfma_f32_16x16x32_fp8_fp8 v[8:11], a[32:33], a[0:1], 0   // 0000000036DC: D3F30008 1A020120
	s_add_u32 s24, s92, s71                                    // 0000000036E4: 8018475C
	s_addc_u32 s25, s93, 0                                     // 0000000036E8: 8219805D
	v_mfma_f32_16x16x32_fp8_fp8 v[8:11], a[34:35], a[2:3], v[8:11]// 0000000036EC: D3F30008 1C220522
	s_add_u32 s69, s69, 0x1000                                 // 0000000036F4: 8045FF45 00001000
	s_add_u32 s70, s70, 0x8000                                 // 0000000036FC: 8046FF46 00008000
	v_mfma_f32_16x16x32_fp8_fp8 v[8:11], a[36:37], a[4:5], v[8:11]// 000000003704: D3F30008 1C220924
	buffer_load_dwordx4 a[60:63], v233, s[12:15], 0 offen      // 00000000370C: E05C1000 80833CE9
	v_mfma_f32_16x16x32_fp8_fp8 v[8:11], a[38:39], a[6:7], v[8:11]// 000000003714: D3F30008 1C220D26
	v_mfma_f32_16x16x32_fp8_fp8 v[12:15], a[40:41], a[0:1], 0  // 00000000371C: D3F3000C 1A020128
	v_mfma_f32_16x16x32_fp8_fp8 v[12:15], a[42:43], a[2:3], v[12:15]// 000000003724: D3F3000C 1C32052A
	v_mfma_f32_16x16x32_fp8_fp8 v[12:15], a[44:45], a[4:5], v[12:15]// 00000000372C: D3F3000C 1C32092C
	buffer_load_dwordx4 a[64:67], v232, s[12:15], 0 offen offset:1024// 000000003734: E05C1400 808340E8
	v_mfma_f32_16x16x32_fp8_fp8 v[12:15], a[46:47], a[6:7], v[12:15]// 00000000373C: D3F3000C 1C320D2E
	v_mfma_f32_16x16x32_fp8_fp8 v[16:19], a[48:49], a[0:1], 0  // 000000003744: D3F30010 1A020130
	v_mfma_f32_16x16x32_fp8_fp8 v[16:19], a[50:51], a[2:3], v[16:19]// 00000000374C: D3F30010 1C420532
	v_mfma_f32_16x16x32_fp8_fp8 v[16:19], a[52:53], a[4:5], v[16:19]// 000000003754: D3F30010 1C420934
	buffer_load_dwordx4 a[68:71], v233, s[12:15], 0 offen offset:1024// 00000000375C: E05C1400 808344E9
	v_mfma_f32_16x16x32_fp8_fp8 v[16:19], a[54:55], a[6:7], v[16:19]// 000000003764: D3F30010 1C420D36
	v_mfma_f32_16x16x32_fp8_fp8 v[20:23], a[24:25], a[8:9], 0  // 00000000376C: D3F30014 1A021118
	v_mfma_f32_16x16x32_fp8_fp8 v[20:23], a[26:27], a[10:11], v[20:23]// 000000003774: D3F30014 1C52151A
	v_mfma_f32_16x16x32_fp8_fp8 v[20:23], a[28:29], a[12:13], v[20:23]// 00000000377C: D3F30014 1C52191C
	buffer_load_dwordx4 a[72:75], v232, s[12:15], 0 offen offset:2048// 000000003784: E05C1800 808348E8
	v_mfma_f32_16x16x32_fp8_fp8 v[20:23], a[30:31], a[14:15], v[20:23]// 00000000378C: D3F30014 1C521D1E
	v_mfma_f32_16x16x32_fp8_fp8 v[24:27], a[32:33], a[8:9], 0  // 000000003794: D3F30018 1A021120
	v_mfma_f32_16x16x32_fp8_fp8 v[24:27], a[34:35], a[10:11], v[24:27]// 00000000379C: D3F30018 1C621522
	v_mfma_f32_16x16x32_fp8_fp8 v[24:27], a[36:37], a[12:13], v[24:27]// 0000000037A4: D3F30018 1C621924
	buffer_load_dwordx4 a[76:79], v233, s[12:15], 0 offen offset:2048// 0000000037AC: E05C1800 80834CE9
	v_mfma_f32_16x16x32_fp8_fp8 v[24:27], a[38:39], a[14:15], v[24:27]// 0000000037B4: D3F30018 1C621D26
	v_mfma_f32_16x16x32_fp8_fp8 v[28:31], a[40:41], a[8:9], 0  // 0000000037BC: D3F3001C 1A021128
	v_mfma_f32_16x16x32_fp8_fp8 v[28:31], a[42:43], a[10:11], v[28:31]// 0000000037C4: D3F3001C 1C72152A
	v_mfma_f32_16x16x32_fp8_fp8 v[28:31], a[44:45], a[12:13], v[28:31]// 0000000037CC: D3F3001C 1C72192C
	buffer_load_dwordx4 a[80:83], v232, s[12:15], 0 offen offset:3072// 0000000037D4: E05C1C00 808350E8
	v_mfma_f32_16x16x32_fp8_fp8 v[28:31], a[46:47], a[14:15], v[28:31]// 0000000037DC: D3F3001C 1C721D2E
	v_mfma_f32_16x16x32_fp8_fp8 v[32:35], a[48:49], a[8:9], 0  // 0000000037E4: D3F30020 1A021130
	v_mfma_f32_16x16x32_fp8_fp8 v[32:35], a[50:51], a[10:11], v[32:35]// 0000000037EC: D3F30020 1C821532
	v_mfma_f32_16x16x32_fp8_fp8 v[32:35], a[52:53], a[12:13], v[32:35]// 0000000037F4: D3F30020 1C821934
	buffer_load_dwordx4 a[84:87], v233, s[12:15], 0 offen offset:3072// 0000000037FC: E05C1C00 808354E9
	v_mfma_f32_16x16x32_fp8_fp8 v[32:35], a[54:55], a[14:15], v[32:35]// 000000003804: D3F30020 1C821D36
	v_mfma_f32_16x16x32_fp8_fp8 v[36:39], a[24:25], a[16:17], 0// 00000000380C: D3F30024 1A022118
	v_mfma_f32_16x16x32_fp8_fp8 v[36:39], a[26:27], a[18:19], v[36:39]// 000000003814: D3F30024 1C92251A
	v_mfma_f32_16x16x32_fp8_fp8 v[36:39], a[28:29], a[20:21], v[36:39]// 00000000381C: D3F30024 1C92291C
	v_mfma_f32_16x16x32_fp8_fp8 v[36:39], a[30:31], a[22:23], v[36:39]// 000000003824: D3F30024 1C922D1E
	v_mfma_f32_16x16x32_fp8_fp8 v[40:43], a[32:33], a[16:17], 0// 00000000382C: D3F30028 1A022120
	v_mfma_f32_16x16x32_fp8_fp8 v[40:43], a[34:35], a[18:19], v[40:43]// 000000003834: D3F30028 1CA22522
	v_mfma_f32_16x16x32_fp8_fp8 v[40:43], a[36:37], a[20:21], v[40:43]// 00000000383C: D3F30028 1CA22924
	v_mfma_f32_16x16x32_fp8_fp8 v[40:43], a[38:39], a[22:23], v[40:43]// 000000003844: D3F30028 1CA22D26
	v_mfma_f32_16x16x32_fp8_fp8 v[44:47], a[40:41], a[16:17], 0// 00000000384C: D3F3002C 1A022128
	v_mfma_f32_16x16x32_fp8_fp8 v[44:47], a[42:43], a[18:19], v[44:47]// 000000003854: D3F3002C 1CB2252A
	v_mfma_f32_16x16x32_fp8_fp8 v[44:47], a[44:45], a[20:21], v[44:47]// 00000000385C: D3F3002C 1CB2292C
	v_mfma_f32_16x16x32_fp8_fp8 v[44:47], a[46:47], a[22:23], v[44:47]// 000000003864: D3F3002C 1CB22D2E
	v_mfma_f32_16x16x32_fp8_fp8 v[48:51], a[48:49], a[16:17], 0// 00000000386C: D3F30030 1A022130
	v_mfma_f32_16x16x32_fp8_fp8 v[48:51], a[50:51], a[18:19], v[48:51]// 000000003874: D3F30030 1CC22532
	v_mfma_f32_16x16x32_fp8_fp8 v[48:51], a[52:53], a[20:21], v[48:51]// 00000000387C: D3F30030 1CC22934
	v_mfma_f32_16x16x32_fp8_fp8 v[48:51], a[54:55], a[22:23], v[48:51]// 000000003884: D3F30030 1CC22D36
	s_waitcnt vmcnt(16)                                        // 00000000388C: BF8C4F70
	v_or_b32_dpp v36, v44, v36 row_shr:8 row_mask:0xf bank_mask:0xf bound_ctrl:1// 000000003890: 284848FA FF09182C
	v_or_b32_dpp v37, v45, v37 row_shr:8 row_mask:0xf bank_mask:0xf bound_ctrl:1// 000000003898: 284A4AFA FF09182D
	v_or_b32_dpp v38, v46, v38 row_shr:8 row_mask:0xf bank_mask:0xf bound_ctrl:1// 0000000038A0: 284C4CFA FF09182E
	v_or_b32_dpp v39, v47, v39 row_shr:8 row_mask:0xf bank_mask:0xf bound_ctrl:1// 0000000038A8: 284E4EFA FF09182F
	v_or_b32_dpp v40, v48, v40 row_shr:8 row_mask:0xf bank_mask:0xf bound_ctrl:1// 0000000038B0: 285050FA FF091830
	v_or_b32_dpp v41, v49, v41 row_shr:8 row_mask:0xf bank_mask:0xf bound_ctrl:1// 0000000038B8: 285252FA FF091831
	v_or_b32_dpp v42, v50, v42 row_shr:8 row_mask:0xf bank_mask:0xf bound_ctrl:1// 0000000038C0: 285454FA FF091832
	v_or_b32_dpp v43, v51, v43 row_shr:8 row_mask:0xf bank_mask:0xf bound_ctrl:1// 0000000038C8: 285656FA FF091833
	v_pk_mul_f32 v[4:5], v[148:149], v[4:5]                    // 0000000038D0: D3B14004 18020994
	v_pk_mul_f32 v[6:7], v[148:149], v[6:7]                    // 0000000038D8: D3B14006 18020D94
	v_pk_mul_f32 v[8:9], v[148:149], v[8:9]                    // 0000000038E0: D3B14008 18021194
	v_pk_mul_f32 v[10:11], v[148:149], v[10:11]                // 0000000038E8: D3B1400A 18021594
	v_pk_mul_f32 v[12:13], v[148:149], v[12:13]                // 0000000038F0: D3B1400C 18021994
	v_pk_mul_f32 v[14:15], v[148:149], v[14:15]                // 0000000038F8: D3B1400E 18021D94
	v_pk_mul_f32 v[16:17], v[148:149], v[16:17]                // 000000003900: D3B14010 18022194
	v_pk_mul_f32 v[18:19], v[148:149], v[18:19]                // 000000003908: D3B14012 18022594
	v_mul_f32_e32 v4, v154, v4                                 // 000000003910: 0A08099A
	v_mul_f32_e32 v5, v154, v5                                 // 000000003914: 0A0A0B9A
	v_mul_f32_e32 v6, v154, v6                                 // 000000003918: 0A0C0D9A
	v_mul_f32_e32 v7, v154, v7                                 // 00000000391C: 0A0E0F9A
	v_mul_f32_e32 v8, v154, v8                                 // 000000003920: 0A10119A
	v_mul_f32_e32 v9, v154, v9                                 // 000000003924: 0A12139A
	v_mul_f32_e32 v10, v154, v10                               // 000000003928: 0A14159A
	v_mul_f32_e32 v11, v154, v11                               // 00000000392C: 0A16179A
	v_mul_f32_e32 v12, v154, v12                               // 000000003930: 0A18199A
	v_mul_f32_e32 v13, v154, v13                               // 000000003934: 0A1A1B9A
	v_mul_f32_e32 v14, v154, v14                               // 000000003938: 0A1C1D9A
	v_mul_f32_e32 v15, v154, v15                               // 00000000393C: 0A1E1F9A
	v_mul_f32_e32 v16, v154, v16                               // 000000003940: 0A20219A
	v_mul_f32_e32 v17, v154, v17                               // 000000003944: 0A22239A
	v_mul_f32_e32 v18, v154, v18                               // 000000003948: 0A24259A
	v_mul_f32_e32 v19, v154, v19                               // 00000000394C: 0A26279A
	v_pk_mul_f32 v[20:21], v[150:151], v[20:21]                // 000000003950: D3B14014 18022996
	v_pk_mul_f32 v[22:23], v[150:151], v[22:23]                // 000000003958: D3B14016 18022D96
	v_pk_mul_f32 v[24:25], v[150:151], v[24:25]                // 000000003960: D3B14018 18023196
	v_pk_mul_f32 v[26:27], v[150:151], v[26:27]                // 000000003968: D3B1401A 18023596
	v_pk_mul_f32 v[28:29], v[150:151], v[28:29]                // 000000003970: D3B1401C 18023996
	v_pk_mul_f32 v[30:31], v[150:151], v[30:31]                // 000000003978: D3B1401E 18023D96
	v_pk_mul_f32 v[32:33], v[150:151], v[32:33]                // 000000003980: D3B14020 18024196
	v_pk_mul_f32 v[34:35], v[150:151], v[34:35]                // 000000003988: D3B14022 18024596
	v_mul_f32_e32 v20, v154, v20                               // 000000003990: 0A28299A
	v_mul_f32_e32 v21, v154, v21                               // 000000003994: 0A2A2B9A
	v_mul_f32_e32 v22, v154, v22                               // 000000003998: 0A2C2D9A
	v_mul_f32_e32 v23, v154, v23                               // 00000000399C: 0A2E2F9A
	v_mul_f32_e32 v24, v154, v24                               // 0000000039A0: 0A30319A
	v_mul_f32_e32 v25, v154, v25                               // 0000000039A4: 0A32339A
	v_mul_f32_e32 v26, v154, v26                               // 0000000039A8: 0A34359A
	v_mul_f32_e32 v27, v154, v27                               // 0000000039AC: 0A36379A
	v_mul_f32_e32 v28, v154, v28                               // 0000000039B0: 0A38399A
	v_mul_f32_e32 v29, v154, v29                               // 0000000039B4: 0A3A3B9A
	v_mul_f32_e32 v30, v154, v30                               // 0000000039B8: 0A3C3D9A
	v_mul_f32_e32 v31, v154, v31                               // 0000000039BC: 0A3E3F9A
	v_mul_f32_e32 v32, v154, v32                               // 0000000039C0: 0A40419A
	v_mul_f32_e32 v33, v154, v33                               // 0000000039C4: 0A42439A
	v_mul_f32_e32 v34, v154, v34                               // 0000000039C8: 0A44459A
	v_mul_f32_e32 v35, v154, v35                               // 0000000039CC: 0A46479A
	v_pk_mul_f32 v[36:37], v[152:153], v[36:37]                // 0000000039D0: D3B14024 18024998
	v_pk_mul_f32 v[38:39], v[152:153], v[38:39]                // 0000000039D8: D3B14026 18024D98
	v_pk_mul_f32 v[40:41], v[152:153], v[40:41]                // 0000000039E0: D3B14028 18025198
	v_pk_mul_f32 v[42:43], v[152:153], v[42:43]                // 0000000039E8: D3B1402A 18025598
	v_mul_f32_e32 v36, v154, v36                               // 0000000039F0: 0A48499A
	v_mul_f32_e32 v37, v154, v37                               // 0000000039F4: 0A4A4B9A
	v_mul_f32_e32 v38, v154, v38                               // 0000000039F8: 0A4C4D9A
	v_mul_f32_e32 v39, v154, v39                               // 0000000039FC: 0A4E4F9A
	v_mul_f32_e32 v40, v154, v40                               // 000000003A00: 0A50519A
	v_mul_f32_e32 v41, v154, v41                               // 000000003A04: 0A52539A
	v_mul_f32_e32 v42, v154, v42                               // 000000003A08: 0A54559A
	v_mul_f32_e32 v43, v154, v43                               // 000000003A0C: 0A56579A
	v_mov_b32_e32 v190, v36                                    // 000000003A10: 7F7C0324
	v_max3_f32 v190, v36, v37, v190                            // 000000003A14: D1D300BE 06FA4B24
	v_max3_f32 v190, v38, v39, v190                            // 000000003A1C: D1D300BE 06FA4F26
	v_max3_f32 v190, v40, v41, v190                            // 000000003A24: D1D300BE 06FA5328
	v_max3_f32 v190, v42, v43, v190                            // 000000003A2C: D1D300BE 06FA572A
	v_mov_b32_e32 v189, v20                                    // 000000003A34: 7F7A0314
	v_max3_f32 v189, v20, v21, v189                            // 000000003A38: D1D300BD 06F62B14
	v_max3_f32 v189, v22, v23, v189                            // 000000003A40: D1D300BD 06F62F16
	v_max3_f32 v189, v24, v25, v189                            // 000000003A48: D1D300BD 06F63318
	v_max3_f32 v189, v26, v27, v189                            // 000000003A50: D1D300BD 06F6371A
	v_max3_f32 v189, v28, v29, v189                            // 000000003A58: D1D300BD 06F63B1C
	v_max3_f32 v189, v30, v31, v189                            // 000000003A60: D1D300BD 06F63F1E
	v_max3_f32 v189, v32, v33, v189                            // 000000003A68: D1D300BD 06F64320
	v_max3_f32 v189, v34, v35, v189                            // 000000003A70: D1D300BD 06F64722
	v_mov_b32_e32 v188, v4                                     // 000000003A78: 7F780304
	v_max3_f32 v188, v4, v5, v188                              // 000000003A7C: D1D300BC 06F20B04
	v_max3_f32 v188, v6, v7, v188                              // 000000003A84: D1D300BC 06F20F06
	v_max3_f32 v188, v8, v9, v188                              // 000000003A8C: D1D300BC 06F21308
	v_max3_f32 v188, v10, v11, v188                            // 000000003A94: D1D300BC 06F2170A
	v_max3_f32 v188, v12, v13, v188                            // 000000003A9C: D1D300BC 06F21B0C
	v_max3_f32 v188, v14, v15, v188                            // 000000003AA4: D1D300BC 06F21F0E
	v_max3_f32 v188, v16, v17, v188                            // 000000003AAC: D1D300BC 06F22310
	v_max3_f32 v188, v18, v19, v188                            // 000000003AB4: D1D300BC 06F22712
	v_max_f32_dpp v190, v190, v190 row_ror:8 row_mask:0xf bank_mask:0xf// 000000003ABC: 177D7CFA FF0128BE
	ds_bpermute_b32 v172, v212, v188                           // 000000003AC4: D87E0000 AC00BCD4
	ds_bpermute_b32 v173, v213, v188                           // 000000003ACC: D87E0000 AD00BCD5
	ds_bpermute_b32 v174, v214, v188                           // 000000003AD4: D87E0000 AE00BCD6
	ds_bpermute_b32 v175, v212, v189                           // 000000003ADC: D87E0000 AF00BDD4
	ds_bpermute_b32 v176, v213, v189                           // 000000003AE4: D87E0000 B000BDD5
	ds_bpermute_b32 v177, v214, v189                           // 000000003AEC: D87E0000 B100BDD6
	ds_bpermute_b32 v178, v212, v190                           // 000000003AF4: D87E0000 B200BED4
	ds_bpermute_b32 v179, v213, v190                           // 000000003AFC: D87E0000 B300BED5
	ds_bpermute_b32 v180, v214, v190                           // 000000003B04: D87E0000 B400BED6
	v_pk_mul_f32 v[124:125], v[200:201], v[124:125]            // 000000003B0C: D3B1407C 1802F9C8
	v_pk_mul_f32 v[126:127], v[200:201], v[126:127]            // 000000003B14: D3B1407E 1802FDC8
	v_pk_mul_f32 v[128:129], v[200:201], v[128:129]            // 000000003B1C: D3B14080 180301C8
	v_pk_mul_f32 v[130:131], v[200:201], v[130:131]            // 000000003B24: D3B14082 180305C8
	v_pk_mul_f32 v[132:133], v[202:203], v[132:133]            // 000000003B2C: D3B14084 180309CA
	v_pk_mul_f32 v[134:135], v[202:203], v[134:135]            // 000000003B34: D3B14086 18030DCA
	v_pk_mul_f32 v[136:137], v[202:203], v[136:137]            // 000000003B3C: D3B14088 180311CA
	v_pk_mul_f32 v[138:139], v[202:203], v[138:139]            // 000000003B44: D3B1408A 180315CA
	v_pk_mul_f32 v[140:141], v[204:205], v[140:141]            // 000000003B4C: D3B1408C 180319CC
	v_pk_mul_f32 v[142:143], v[204:205], v[142:143]            // 000000003B54: D3B1408E 18031DCC
	v_pk_mul_f32 v[144:145], v[204:205], v[144:145]            // 000000003B5C: D3B14090 180321CC
	v_pk_mul_f32 v[146:147], v[204:205], v[146:147]            // 000000003B64: D3B14092 180325CC
	s_waitcnt lgkmcnt(6)                                       // 000000003B6C: BF8CC67F
	v_max3_f32 v188, v172, v173, v188                          // 000000003B70: D1D300BC 06F35BAC
	v_max_f32_e32 v188, v174, v188                             // 000000003B78: 177979AE
	s_waitcnt lgkmcnt(3)                                       // 000000003B7C: BF8CC37F
	v_max3_f32 v189, v175, v176, v189                          // 000000003B80: D1D300BD 06F761AF
	v_max_f32_e32 v189, v177, v189                             // 000000003B88: 177B7BB1
	s_waitcnt lgkmcnt(0)                                       // 000000003B8C: BF8CC07F
	v_max3_f32 v190, v178, v179, v190                          // 000000003B90: D1D300BE 06FB67B2
	v_max_f32_e32 v190, v180, v190                             // 000000003B98: 177D7DB4
	ds_write_b128 v252, v[188:191]                             // 000000003B9C: D9BE0000 0000BCFC
	s_waitcnt lgkmcnt(0)                                       // 000000003BA4: BF8CC07F
	s_barrier                                                  // 000000003BA8: BF8A0000
	ds_read_b128 v[172:175], v253                              // 000000003BAC: D9FE0000 AC0000FD
	ds_read_b128 v[176:179], v253 offset:256                   // 000000003BB4: D9FE0100 B00000FD
	ds_read_b128 v[180:183], v253 offset:512                   // 000000003BBC: D9FE0200 B40000FD
	ds_read_b128 v[184:187], v253 offset:768                   // 000000003BC4: D9FE0300 B80000FD
	v_pk_mul_f32 v[100:101], v[158:159], v[100:101]            // 000000003BCC: D3B14064 1802C99E
	v_pk_mul_f32 v[102:103], v[158:159], v[102:103]            // 000000003BD4: D3B14066 1802CD9E
	v_pk_mul_f32 v[104:105], v[158:159], v[104:105]            // 000000003BDC: D3B14068 1802D19E
	v_pk_mul_f32 v[106:107], v[158:159], v[106:107]            // 000000003BE4: D3B1406A 1802D59E
	v_pk_mul_f32 v[108:109], v[160:161], v[108:109]            // 000000003BEC: D3B1406C 1802D9A0
	v_pk_mul_f32 v[110:111], v[160:161], v[110:111]            // 000000003BF4: D3B1406E 1802DDA0
	v_pk_mul_f32 v[112:113], v[160:161], v[112:113]            // 000000003BFC: D3B14070 1802E1A0
	v_pk_mul_f32 v[114:115], v[160:161], v[114:115]            // 000000003C04: D3B14072 1802E5A0
	v_pk_mul_f32 v[116:117], v[162:163], v[116:117]            // 000000003C0C: D3B14074 1802E9A2
	v_pk_mul_f32 v[118:119], v[162:163], v[118:119]            // 000000003C14: D3B14076 1802EDA2
	v_pk_mul_f32 v[120:121], v[162:163], v[120:121]            // 000000003C1C: D3B14078 1802F1A2
	v_pk_mul_f32 v[122:123], v[162:163], v[122:123]            // 000000003C24: D3B1407A 1802F5A2
	s_waitcnt lgkmcnt(0)                                       // 000000003C2C: BF8CC07F
	v_max3_f32 v188, v172, v176, v188                          // 000000003C30: D1D300BC 06F361AC
	v_max3_f32 v189, v173, v177, v189                          // 000000003C38: D1D300BD 06F763AD
	v_max3_f32 v190, v174, v178, v190                          // 000000003C40: D1D300BE 06FB65AE
	v_max3_f32 v188, v180, v184, v188                          // 000000003C48: D1D300BC 06F371B4
	v_max3_f32 v189, v181, v185, v189                          // 000000003C50: D1D300BD 06F773B5
	v_max3_f32 v190, v182, v186, v190                          // 000000003C58: D1D300BE 06FB75B6
	v_max_f32_e32 v197, v188, v194                             // 000000003C60: 178B85BC
	v_mul_f32_e64 v168, -s46, v197                             // 000000003C64: D10500A8 20038A2E
	v_mov_b32_e32 v169, v168                                   // 000000003C6C: 7F5203A8
	v_pk_fma_f32 v[4:5], v[4:5], s[46:47], v[168:169]          // 000000003C70: D3B04004 1EA05D04
	v_pk_fma_f32 v[6:7], v[6:7], s[46:47], v[168:169]          // 000000003C78: D3B04006 1EA05D06
	v_exp_f32_e32 v4, v4                                       // 000000003C80: 7E084104
	v_exp_f32_e32 v5, v5                                       // 000000003C84: 7E0A4105
	v_exp_f32_e32 v6, v6                                       // 000000003C88: 7E0C4106
	v_exp_f32_e32 v7, v7                                       // 000000003C8C: 7E0E4107
	v_pk_fma_f32 v[8:9], v[8:9], s[46:47], v[168:169]          // 000000003C90: D3B04008 1EA05D08
	v_pk_fma_f32 v[10:11], v[10:11], s[46:47], v[168:169]      // 000000003C98: D3B0400A 1EA05D0A
	v_exp_f32_e32 v8, v8                                       // 000000003CA0: 7E104108
	v_exp_f32_e32 v9, v9                                       // 000000003CA4: 7E124109
	v_exp_f32_e32 v10, v10                                     // 000000003CA8: 7E14410A
	v_exp_f32_e32 v11, v11                                     // 000000003CAC: 7E16410B
	v_pk_fma_f32 v[12:13], v[12:13], s[46:47], v[168:169]      // 000000003CB0: D3B0400C 1EA05D0C
	v_pk_fma_f32 v[14:15], v[14:15], s[46:47], v[168:169]      // 000000003CB8: D3B0400E 1EA05D0E
	v_exp_f32_e32 v12, v12                                     // 000000003CC0: 7E18410C
	v_exp_f32_e32 v13, v13                                     // 000000003CC4: 7E1A410D
	v_exp_f32_e32 v14, v14                                     // 000000003CC8: 7E1C410E
	v_exp_f32_e32 v15, v15                                     // 000000003CCC: 7E1E410F
	v_pk_fma_f32 v[16:17], v[16:17], s[46:47], v[168:169]      // 000000003CD0: D3B04010 1EA05D10
	v_pk_fma_f32 v[18:19], v[18:19], s[46:47], v[168:169]      // 000000003CD8: D3B04012 1EA05D12
	v_exp_f32_e32 v16, v16                                     // 000000003CE0: 7E204110
	v_exp_f32_e32 v17, v17                                     // 000000003CE4: 7E224111
	v_exp_f32_e32 v18, v18                                     // 000000003CE8: 7E244112
	v_exp_f32_e32 v19, v19                                     // 000000003CEC: 7E264113
	v_max_f32_e32 v198, v189, v195                             // 000000003CF0: 178D87BD
	v_mul_f32_e64 v168, -s46, v198                             // 000000003CF4: D10500A8 20038C2E
	v_mov_b32_e32 v169, v168                                   // 000000003CFC: 7F5203A8
	v_pk_fma_f32 v[20:21], v[20:21], s[46:47], v[168:169]      // 000000003D00: D3B04014 1EA05D14
	v_pk_fma_f32 v[22:23], v[22:23], s[46:47], v[168:169]      // 000000003D08: D3B04016 1EA05D16
	v_exp_f32_e32 v20, v20                                     // 000000003D10: 7E284114
	v_exp_f32_e32 v21, v21                                     // 000000003D14: 7E2A4115
	v_exp_f32_e32 v22, v22                                     // 000000003D18: 7E2C4116
	v_exp_f32_e32 v23, v23                                     // 000000003D1C: 7E2E4117
	v_pk_fma_f32 v[24:25], v[24:25], s[46:47], v[168:169]      // 000000003D20: D3B04018 1EA05D18
	v_pk_fma_f32 v[26:27], v[26:27], s[46:47], v[168:169]      // 000000003D28: D3B0401A 1EA05D1A
	v_exp_f32_e32 v24, v24                                     // 000000003D30: 7E304118
	v_exp_f32_e32 v25, v25                                     // 000000003D34: 7E324119
	v_exp_f32_e32 v26, v26                                     // 000000003D38: 7E34411A
	v_exp_f32_e32 v27, v27                                     // 000000003D3C: 7E36411B
	v_pk_fma_f32 v[28:29], v[28:29], s[46:47], v[168:169]      // 000000003D40: D3B0401C 1EA05D1C
	v_pk_fma_f32 v[30:31], v[30:31], s[46:47], v[168:169]      // 000000003D48: D3B0401E 1EA05D1E
	v_exp_f32_e32 v28, v28                                     // 000000003D50: 7E38411C
	v_exp_f32_e32 v29, v29                                     // 000000003D54: 7E3A411D
	v_exp_f32_e32 v30, v30                                     // 000000003D58: 7E3C411E
	v_exp_f32_e32 v31, v31                                     // 000000003D5C: 7E3E411F
	v_pk_fma_f32 v[32:33], v[32:33], s[46:47], v[168:169]      // 000000003D60: D3B04020 1EA05D20
	v_pk_fma_f32 v[34:35], v[34:35], s[46:47], v[168:169]      // 000000003D68: D3B04022 1EA05D22
	v_exp_f32_e32 v32, v32                                     // 000000003D70: 7E404120
	v_exp_f32_e32 v33, v33                                     // 000000003D74: 7E424121
	v_exp_f32_e32 v34, v34                                     // 000000003D78: 7E444122
	v_exp_f32_e32 v35, v35                                     // 000000003D7C: 7E464123
	v_max_f32_e32 v199, v190, v196                             // 000000003D80: 178F89BE
	v_mul_f32_e64 v168, -s46, v199                             // 000000003D84: D10500A8 20038E2E
	v_mov_b32_e32 v169, v168                                   // 000000003D8C: 7F5203A8
	v_pk_fma_f32 v[36:37], v[36:37], s[46:47], v[168:169]      // 000000003D90: D3B04024 1EA05D24
	v_pk_fma_f32 v[38:39], v[38:39], s[46:47], v[168:169]      // 000000003D98: D3B04026 1EA05D26
	v_exp_f32_e32 v36, v36                                     // 000000003DA0: 7E484124
	v_exp_f32_e32 v37, v37                                     // 000000003DA4: 7E4A4125
	v_exp_f32_e32 v38, v38                                     // 000000003DA8: 7E4C4126
	v_exp_f32_e32 v39, v39                                     // 000000003DAC: 7E4E4127
	v_pk_fma_f32 v[40:41], v[40:41], s[46:47], v[168:169]      // 000000003DB0: D3B04028 1EA05D28
	v_pk_fma_f32 v[42:43], v[42:43], s[46:47], v[168:169]      // 000000003DB8: D3B0402A 1EA05D2A
	v_exp_f32_e32 v40, v40                                     // 000000003DC0: 7E504128
	v_exp_f32_e32 v41, v41                                     // 000000003DC4: 7E524129
	v_exp_f32_e32 v42, v42                                     // 000000003DC8: 7E54412A
	v_exp_f32_e32 v43, v43                                     // 000000003DCC: 7E56412B
	v_mul_f32_e32 v52, v156, v4                                // 000000003DD0: 0A68099C
	v_mul_f32_e32 v53, v156, v5                                // 000000003DD4: 0A6A0B9C
	v_mul_f32_e32 v54, v156, v6                                // 000000003DD8: 0A6C0D9C
	v_mul_f32_e32 v55, v156, v7                                // 000000003DDC: 0A6E0F9C
	v_mul_f32_e32 v56, v156, v8                                // 000000003DE0: 0A70119C
	v_mul_f32_e32 v57, v156, v9                                // 000000003DE4: 0A72139C
	v_mul_f32_e32 v58, v156, v10                               // 000000003DE8: 0A74159C
	v_mul_f32_e32 v59, v156, v11                               // 000000003DEC: 0A76179C
	v_mul_f32_e32 v60, v156, v12                               // 000000003DF0: 0A78199C
	v_mul_f32_e32 v61, v156, v13                               // 000000003DF4: 0A7A1B9C
	v_mul_f32_e32 v62, v156, v14                               // 000000003DF8: 0A7C1D9C
	v_mul_f32_e32 v63, v156, v15                               // 000000003DFC: 0A7E1F9C
	v_mul_f32_e32 v64, v156, v16                               // 000000003E00: 0A80219C
	v_mul_f32_e32 v65, v156, v17                               // 000000003E04: 0A82239C
	v_mul_f32_e32 v66, v156, v18                               // 000000003E08: 0A84259C
	v_mul_f32_e32 v67, v156, v19                               // 000000003E0C: 0A86279C
	v_mul_f32_e32 v68, v156, v20                               // 000000003E10: 0A88299C
	v_mul_f32_e32 v69, v156, v21                               // 000000003E14: 0A8A2B9C
	v_mul_f32_e32 v70, v156, v22                               // 000000003E18: 0A8C2D9C
	v_mul_f32_e32 v71, v156, v23                               // 000000003E1C: 0A8E2F9C
	v_mul_f32_e32 v72, v156, v24                               // 000000003E20: 0A90319C
	v_mul_f32_e32 v73, v156, v25                               // 000000003E24: 0A92339C
	v_mul_f32_e32 v74, v156, v26                               // 000000003E28: 0A94359C
	v_mul_f32_e32 v75, v156, v27                               // 000000003E2C: 0A96379C
	v_mul_f32_e32 v76, v156, v28                               // 000000003E30: 0A98399C
	v_mul_f32_e32 v77, v156, v29                               // 000000003E34: 0A9A3B9C
	v_mul_f32_e32 v78, v156, v30                               // 000000003E38: 0A9C3D9C
	v_mul_f32_e32 v79, v156, v31                               // 000000003E3C: 0A9E3F9C
	v_mul_f32_e32 v80, v156, v32                               // 000000003E40: 0AA0419C
	v_mul_f32_e32 v81, v156, v33                               // 000000003E44: 0AA2439C
	v_mul_f32_e32 v82, v156, v34                               // 000000003E48: 0AA4459C
	v_mul_f32_e32 v83, v156, v35                               // 000000003E4C: 0AA6479C
	v_mul_f32_e32 v84, v156, v36                               // 000000003E50: 0AA8499C
	v_mul_f32_e32 v85, v156, v37                               // 000000003E54: 0AAA4B9C
	v_mul_f32_e32 v86, v156, v38                               // 000000003E58: 0AAC4D9C
	v_mul_f32_e32 v87, v156, v39                               // 000000003E5C: 0AAE4F9C
	v_mul_f32_e32 v88, v156, v40                               // 000000003E60: 0AB0519C
	v_mul_f32_e32 v89, v156, v41                               // 000000003E64: 0AB2539C
	v_mul_f32_e32 v90, v156, v42                               // 000000003E68: 0AB4559C
	v_mul_f32_e32 v91, v156, v43                               // 000000003E6C: 0AB6579C
	buffer_load_dword v155, v238, s[20:23], 0 offen            // 000000003E70: E0501000 80059BEE
	v_sub_f32_e32 v200, v194, v197                             // 000000003E78: 05918BC2
	v_cmp_eq_u32_e64 s[98:99], v225, v194                      // 000000003E7C: D0CA0062 000385E1
	v_cndmask_b32_e64 v200, v200, 0, s[98:99]                  // 000000003E84: D10000C8 018901C8
	v_mov_b32_e32 v194, v197                                   // 000000003E8C: 7F8403C5
	v_mul_f32_e32 v200, s46, v200                              // 000000003E90: 0B91902E
	v_exp_f32_e32 v200, v200                                   // 000000003E94: 7F9041C8
	v_sub_f32_e32 v202, v195, v198                             // 000000003E98: 05958DC3
	v_cmp_eq_u32_e64 s[98:99], v225, v195                      // 000000003E9C: D0CA0062 000387E1
	v_cndmask_b32_e64 v202, v202, 0, s[98:99]                  // 000000003EA4: D10000CA 018901CA
	v_mov_b32_e32 v195, v198                                   // 000000003EAC: 7F8603C6
	v_mul_f32_e32 v202, s46, v202                              // 000000003EB0: 0B95942E
	v_exp_f32_e32 v202, v202                                   // 000000003EB4: 7F9441CA
	v_sub_f32_e32 v204, v196, v199                             // 000000003EB8: 05998FC4
	v_cmp_eq_u32_e64 s[98:99], v225, v196                      // 000000003EBC: D0CA0062 000389E1
	v_cndmask_b32_e64 v204, v204, 0, s[98:99]                  // 000000003EC4: D10000CC 018901CC
	v_mov_b32_e32 v196, v199                                   // 000000003ECC: 7F8803C7
	v_mul_f32_e32 v204, s46, v204                              // 000000003ED0: 0B99982E
	v_exp_f32_e32 v204, v204                                   // 000000003ED4: 7F9841CC
	v_mov_b32_e32 v201, v200                                   // 000000003ED8: 7F9203C8
	v_mov_b32_e32 v203, v202                                   // 000000003EDC: 7F9603CA
	v_mov_b32_e32 v205, v204                                   // 000000003EE0: 7F9A03CC
	s_waitcnt lgkmcnt(0)                                       // 000000003EE4: BF8CC07F
	s_barrier                                                  // 000000003EE8: BF8A0000
	buffer_load_dword v157, v239, s[24:27], 0 offen            // 000000003EEC: E0501000 80069DEF
	v_mul_f32_e32 v206, v200, v206                             // 000000003EF4: 0B9D9DC8
	v_mov_b32_e32 v207, 0                                      // 000000003EF8: 7F9E0280
	v_pk_add_f32 v[206:207], v[4:5], v[206:207]                // 000000003EFC: D3B240CE 18039D04
	v_pk_add_f32 v[206:207], v[6:7], v[206:207]                // 000000003F04: D3B240CE 18039D06
	v_pk_add_f32 v[206:207], v[8:9], v[206:207]                // 000000003F0C: D3B240CE 18039D08
	v_pk_add_f32 v[206:207], v[10:11], v[206:207]              // 000000003F14: D3B240CE 18039D0A
	v_pk_add_f32 v[206:207], v[12:13], v[206:207]              // 000000003F1C: D3B240CE 18039D0C
	v_pk_add_f32 v[206:207], v[14:15], v[206:207]              // 000000003F24: D3B240CE 18039D0E
	v_pk_add_f32 v[206:207], v[16:17], v[206:207]              // 000000003F2C: D3B240CE 18039D10
	v_pk_add_f32 v[206:207], v[18:19], v[206:207]              // 000000003F34: D3B240CE 18039D12
	v_add_f32_e32 v206, v207, v206                             // 000000003F3C: 039D9DCF
	v_mul_f32_e32 v208, v202, v208                             // 000000003F40: 0BA1A1CA
	v_mov_b32_e32 v209, 0                                      // 000000003F44: 7FA20280
	v_pk_add_f32 v[208:209], v[20:21], v[208:209]              // 000000003F48: D3B240D0 1803A114
	v_pk_add_f32 v[208:209], v[22:23], v[208:209]              // 000000003F50: D3B240D0 1803A116
	v_pk_add_f32 v[208:209], v[24:25], v[208:209]              // 000000003F58: D3B240D0 1803A118
	v_pk_add_f32 v[208:209], v[26:27], v[208:209]              // 000000003F60: D3B240D0 1803A11A
	v_pk_add_f32 v[208:209], v[28:29], v[208:209]              // 000000003F68: D3B240D0 1803A11C
	v_pk_add_f32 v[208:209], v[30:31], v[208:209]              // 000000003F70: D3B240D0 1803A11E
	v_pk_add_f32 v[208:209], v[32:33], v[208:209]              // 000000003F78: D3B240D0 1803A120
	v_pk_add_f32 v[208:209], v[34:35], v[208:209]              // 000000003F80: D3B240D0 1803A122
	v_add_f32_e32 v208, v209, v208                             // 000000003F88: 03A1A1D1
	v_mul_f32_e32 v210, v204, v210                             // 000000003F8C: 0BA5A5CC
	v_mov_b32_e32 v211, 0                                      // 000000003F90: 7FA60280
	v_pk_add_f32 v[210:211], v[36:37], v[210:211]              // 000000003F94: D3B240D2 1803A524
	v_pk_add_f32 v[210:211], v[38:39], v[210:211]              // 000000003F9C: D3B240D2 1803A526
	v_pk_add_f32 v[210:211], v[40:41], v[210:211]              // 000000003FA4: D3B240D2 1803A528
	v_pk_add_f32 v[210:211], v[42:43], v[210:211]              // 000000003FAC: D3B240D2 1803A52A
	v_add_f32_e32 v210, v211, v210                             // 000000003FB4: 03A5A5D3
	s_waitcnt lgkmcnt(0)                                       // 000000003FB8: BF8CC07F
	v_sub_f32_e32 v188, v188, v194                             // 000000003FBC: 057985BC
	v_sub_f32_e32 v189, v189, v195                             // 000000003FC0: 057B87BD
	v_sub_f32_e32 v190, v190, v196                             // 000000003FC4: 057D89BE
	v_mul_f32_e32 v188, s46, v188                              // 000000003FC8: 0B79782E
	v_mul_f32_e32 v189, s46, v189                              // 000000003FCC: 0B7B7A2E
	v_mul_f32_e32 v190, s46, v190                              // 000000003FD0: 0B7D7C2E
	v_exp_f32_e32 v188, v188                                   // 000000003FD4: 7F7841BC
	v_exp_f32_e32 v189, v189                                   // 000000003FD8: 7F7A41BD
	v_exp_f32_e32 v190, v190                                   // 000000003FDC: 7F7C41BE
	v_mul_f32_e32 v188, v156, v188                             // 000000003FE0: 0B79799C
	v_mul_f32_e32 v189, v156, v189                             // 000000003FE4: 0B7B7B9C
	v_mul_f32_e32 v190, v156, v190                             // 000000003FE8: 0B7D7D9C
	v_add_f32_e32 v188, 0x3089705f, v188                       // 000000003FEC: 037978FF 3089705F
	v_add_f32_e32 v189, 0x3089705f, v189                       // 000000003FF4: 037B7AFF 3089705F
	v_add_f32_e32 v190, 0x3089705f, v190                       // 000000003FFC: 037D7CFF 3089705F
	v_rcp_f32_e32 v188, v188                                   // 000000004004: 7F7845BC
	v_rcp_f32_e32 v189, v189                                   // 000000004008: 7F7A45BD
	v_rcp_f32_e32 v190, v190                                   // 00000000400C: 7F7C45BE
	v_mul_f32_e32 v188, 0x43700000, v188                       // 000000004010: 0B7978FF 43700000
	v_mul_f32_e32 v189, 0x43700000, v189                       // 000000004018: 0B7B7AFF 43700000
	v_mul_f32_e32 v190, 0x43700000, v190                       // 000000004020: 0B7D7CFF 43700000
	v_mov_b32_e32 v192, v190                                   // 000000004028: 7F8003BE
	v_mov_b32_e32 v193, v190                                   // 00000000402C: 7F8203BE
	v_mov_b32_e32 v190, v189                                   // 000000004030: 7F7C03BD
	v_mov_b32_e32 v191, v189                                   // 000000004034: 7F7E03BD
	v_mov_b32_e32 v189, v188                                   // 000000004038: 7F7A03BC
	v_pk_mul_f32 v[4:5], v[188:189], v[52:53]                  // 00000000403C: D3B14004 180269BC
	v_pk_mul_f32 v[6:7], v[188:189], v[54:55]                  // 000000004044: D3B14006 18026DBC
	v_pk_mul_f32 v[8:9], v[188:189], v[56:57]                  // 00000000404C: D3B14008 180271BC
	v_pk_mul_f32 v[10:11], v[188:189], v[58:59]                // 000000004054: D3B1400A 180275BC
	v_pk_mul_f32 v[12:13], v[188:189], v[60:61]                // 00000000405C: D3B1400C 180279BC
	v_pk_mul_f32 v[14:15], v[188:189], v[62:63]                // 000000004064: D3B1400E 18027DBC
	v_pk_mul_f32 v[16:17], v[188:189], v[64:65]                // 00000000406C: D3B14010 180281BC
	v_pk_mul_f32 v[18:19], v[188:189], v[66:67]                // 000000004074: D3B14012 180285BC
	v_pk_mul_f32 v[20:21], v[190:191], v[68:69]                // 00000000407C: D3B14014 180289BE
	v_pk_mul_f32 v[22:23], v[190:191], v[70:71]                // 000000004084: D3B14016 18028DBE
	v_pk_mul_f32 v[24:25], v[190:191], v[72:73]                // 00000000408C: D3B14018 180291BE
	v_pk_mul_f32 v[26:27], v[190:191], v[74:75]                // 000000004094: D3B1401A 180295BE
	v_pk_mul_f32 v[28:29], v[190:191], v[76:77]                // 00000000409C: D3B1401C 180299BE
	v_pk_mul_f32 v[30:31], v[190:191], v[78:79]                // 0000000040A4: D3B1401E 18029DBE
	v_pk_mul_f32 v[32:33], v[190:191], v[80:81]                // 0000000040AC: D3B14020 1802A1BE
	v_pk_mul_f32 v[34:35], v[190:191], v[82:83]                // 0000000040B4: D3B14022 1802A5BE
	v_pk_mul_f32 v[36:37], v[192:193], v[84:85]                // 0000000040BC: D3B14024 1802A9C0
	v_pk_mul_f32 v[38:39], v[192:193], v[86:87]                // 0000000040C4: D3B14026 1802ADC0
	v_pk_mul_f32 v[40:41], v[192:193], v[88:89]                // 0000000040CC: D3B14028 1802B1C0
	v_pk_mul_f32 v[42:43], v[192:193], v[90:91]                // 0000000040D4: D3B1402A 1802B5C0
	v_cvt_pk_fp8_f32 v4, v4, v5                                // 0000000040DC: D2A20004 00020B04
	v_cvt_pk_fp8_f32 v4, v6, v7 op_sel:[0,0,1]                 // 0000000040E4: D2A24004 00020F06
	v_cvt_pk_fp8_f32 v5, v8, v9                                // 0000000040EC: D2A20005 00021308
	v_cvt_pk_fp8_f32 v5, v10, v11 op_sel:[0,0,1]               // 0000000040F4: D2A24005 0002170A
	v_cvt_pk_fp8_f32 v6, v12, v13                              // 0000000040FC: D2A20006 00021B0C
	v_cvt_pk_fp8_f32 v6, v14, v15 op_sel:[0,0,1]               // 000000004104: D2A24006 00021F0E
	v_cvt_pk_fp8_f32 v7, v16, v17                              // 00000000410C: D2A20007 00022310
	v_cvt_pk_fp8_f32 v7, v18, v19 op_sel:[0,0,1]               // 000000004114: D2A24007 00022712
	v_cvt_pk_fp8_f32 v8, v20, v21                              // 00000000411C: D2A20008 00022B14
	v_cvt_pk_fp8_f32 v8, v22, v23 op_sel:[0,0,1]               // 000000004124: D2A24008 00022F16
	v_cvt_pk_fp8_f32 v9, v24, v25                              // 00000000412C: D2A20009 00023318
	v_cvt_pk_fp8_f32 v9, v26, v27 op_sel:[0,0,1]               // 000000004134: D2A24009 0002371A
	v_cvt_pk_fp8_f32 v10, v28, v29                             // 00000000413C: D2A2000A 00023B1C
	v_cvt_pk_fp8_f32 v10, v30, v31 op_sel:[0,0,1]              // 000000004144: D2A2400A 00023F1E
	v_cvt_pk_fp8_f32 v11, v32, v33                             // 00000000414C: D2A2000B 00024320
	v_cvt_pk_fp8_f32 v11, v34, v35 op_sel:[0,0,1]              // 000000004154: D2A2400B 00024722
	v_cvt_pk_fp8_f32 v12, v36, v37                             // 00000000415C: D2A2000C 00024B24
	v_cvt_pk_fp8_f32 v12, v38, v39 op_sel:[0,0,1]              // 000000004164: D2A2400C 00024F26
	v_cvt_pk_fp8_f32 v13, v40, v41                             // 00000000416C: D2A2000D 00025328
	v_cvt_pk_fp8_f32 v13, v42, v43 op_sel:[0,0,1]              // 000000004174: D2A2400D 0002572A
	v_mov_b32_dpp v14, v12 row_shl:8 row_mask:0xf bank_mask:0xf bound_ctrl:1// 00000000417C: 7E1C02FA FF09080C
	v_and_b32_e32 v12, v12, v224                               // 000000004184: 2619C10C
	v_mov_b32_dpp v15, v13 row_shl:8 row_mask:0xf bank_mask:0xf bound_ctrl:1// 000000004188: 7E1E02FA FF09080D
	v_and_b32_e32 v13, v13, v224                               // 000000004190: 261BC10D
	ds_write_b32 v254, v4 offset:8192                          // 000000004194: D81A2000 000004FE
	ds_write_b32 v254, v5 offset:9216                          // 00000000419C: D81A2400 000005FE
	ds_write_b32 v254, v6 offset:10240                         // 0000000041A4: D81A2800 000006FE
	ds_write_b32 v254, v7 offset:11264                         // 0000000041AC: D81A2C00 000007FE
	ds_write_b32 v254, v8 offset:12288                         // 0000000041B4: D81A3000 000008FE
	ds_write_b32 v254, v9 offset:13312                         // 0000000041BC: D81A3400 000009FE
	ds_write_b32 v254, v10 offset:14336                        // 0000000041C4: D81A3800 00000AFE
	ds_write_b32 v254, v11 offset:15360                        // 0000000041CC: D81A3C00 00000BFE
	ds_write_b32 v254, v12 offset:16384                        // 0000000041D4: D81A4000 00000CFE
	ds_write_b32 v254, v13 offset:17408                        // 0000000041DC: D81A4400 00000DFE
	ds_write_b32 v254, v14 offset:18432                        // 0000000041E4: D81A4800 00000EFE
	ds_write_b32 v254, v15 offset:19456                        // 0000000041EC: D81A4C00 00000FFE
	v_rcp_f32_e32 v158, v188                                   // 0000000041F4: 7F3C45BC
	v_rcp_f32_e32 v160, v190                                   // 0000000041F8: 7F4045BE
	v_rcp_f32_e32 v162, v192                                   // 0000000041FC: 7F4445C0
	v_mov_b32_e32 v159, v158                                   // 000000004200: 7F3E039E
	v_mov_b32_e32 v161, v160                                   // 000000004204: 7F4203A0
	v_mov_b32_e32 v163, v162                                   // 000000004208: 7F4603A2
	v_pk_add_f32 v[124:125], v[124:125], v[100:101]            // 00000000420C: D3B2407C 1802C97C
	v_pk_add_f32 v[126:127], v[126:127], v[102:103]            // 000000004214: D3B2407E 1802CD7E
	v_pk_add_f32 v[128:129], v[128:129], v[104:105]            // 00000000421C: D3B24080 1802D180
	v_pk_add_f32 v[130:131], v[130:131], v[106:107]            // 000000004224: D3B24082 1802D582
	v_pk_add_f32 v[132:133], v[132:133], v[108:109]            // 00000000422C: D3B24084 1802D984
	v_pk_add_f32 v[134:135], v[134:135], v[110:111]            // 000000004234: D3B24086 1802DD86
	v_pk_add_f32 v[136:137], v[136:137], v[112:113]            // 00000000423C: D3B24088 1802E188
	v_pk_add_f32 v[138:139], v[138:139], v[114:115]            // 000000004244: D3B2408A 1802E58A
	v_pk_add_f32 v[140:141], v[140:141], v[116:117]            // 00000000424C: D3B2408C 1802E98C
	v_pk_add_f32 v[142:143], v[142:143], v[118:119]            // 000000004254: D3B2408E 1802ED8E
	v_pk_add_f32 v[144:145], v[144:145], v[120:121]            // 00000000425C: D3B24090 1802F190
	v_pk_add_f32 v[146:147], v[146:147], v[122:123]            // 000000004264: D3B24092 1802F592
	s_waitcnt lgkmcnt(0)                                       // 00000000426C: BF8CC07F
	s_barrier                                                  // 000000004270: BF8A0000
	ds_read_b128 v[4:7], v255 offset:8192                      // 000000004274: D9FE2000 040000FF
	ds_read_b128 v[8:11], v255 offset:9216                     // 00000000427C: D9FE2400 080000FF
	ds_read_b128 v[12:15], v255 offset:10240                   // 000000004284: D9FE2800 0C0000FF
	ds_read_b128 v[16:19], v255 offset:11264                   // 00000000428C: D9FE2C00 100000FF
	ds_read_b128 v[20:23], v255 offset:12288                   // 000000004294: D9FE3000 140000FF
	ds_read_b128 v[24:27], v255 offset:13312                   // 00000000429C: D9FE3400 180000FF
	ds_read_b128 v[28:31], v255 offset:14336                   // 0000000042A4: D9FE3800 1C0000FF
	ds_read_b128 v[32:35], v255 offset:15360                   // 0000000042AC: D9FE3C00 200000FF
	ds_read_b128 v[36:39], v255 offset:16384                   // 0000000042B4: D9FE4000 240000FF
	ds_read_b128 v[40:43], v255 offset:17408                   // 0000000042BC: D9FE4400 280000FF
	ds_read_b128 v[44:47], v255 offset:18432                   // 0000000042C4: D9FE4800 2C0000FF
	ds_read_b128 v[48:51], v255 offset:19456                   // 0000000042CC: D9FE4C00 300000FF
	s_waitcnt vmcnt(10)                                        // 0000000042D4: BF8C0F7A
	s_waitcnt lgkmcnt(11)                                      // 0000000042D8: BF8CCB7F
	v_mfma_f32_16x16x32_fp8_fp8 v[100:103], a[88:89], v[4:5], 0// 0000000042DC: D3F30064 0A020958
	s_lshl_b32 s68, s76, 2                                     // 0000000042E4: 8E44824C
	v_mfma_f32_16x16x32_fp8_fp8 v[104:107], a[104:105], v[4:5], 0// 0000000042E8: D3F30068 0A020968
	s_cmp_lt_u32 s76, s77                                      // 0000000042F0: BF0A4D4C
	s_cselect_b32 s68, s68, 0                                  // 0000000042F4: 85448044
	v_mfma_f32_16x16x32_fp8_fp8 v[100:103], a[90:91], v[6:7], v[100:103]// 0000000042F8: D3F30064 0D920D5A
	buffer_load_dwordx4 a[120:123], v234, s[16:19], 0 offen    // 000000004300: E05C1000 808478EA
	v_mfma_f32_16x16x32_fp8_fp8 v[104:107], a[106:107], v[6:7], v[104:107]// 000000004308: D3F30068 0DA20D6A
	s_addk_i32 s76, 0x1                                        // 000000004310: B74C0001
	s_waitcnt lgkmcnt(10)                                      // 000000004314: BF8CCA7F
	v_mfma_f32_16x16x32_fp8_fp8 v[100:103], a[92:93], v[8:9], v[100:103]// 000000004318: D3F30064 0D92115C
	v_mfma_f32_16x16x32_fp8_fp8 v[104:107], a[108:109], v[8:9], v[104:107]// 000000004320: D3F30068 0DA2116C
	v_mfma_f32_16x16x32_fp8_fp8 v[100:103], a[94:95], v[10:11], v[100:103]// 000000004328: D3F30064 0D92155E
	buffer_load_dwordx4 a[124:127], v235, s[16:19], 0 offen    // 000000004330: E05C1000 80847CEB
	v_mfma_f32_16x16x32_fp8_fp8 v[104:107], a[110:111], v[10:11], v[104:107]// 000000004338: D3F30068 0DA2156E
	s_waitcnt lgkmcnt(9)                                       // 000000004340: BF8CC97F
	v_mfma_f32_16x16x32_fp8_fp8 v[100:103], a[96:97], v[12:13], v[100:103]// 000000004344: D3F30064 0D921960
	v_mfma_f32_16x16x32_fp8_fp8 v[104:107], a[112:113], v[12:13], v[104:107]// 00000000434C: D3F30068 0DA21970
	v_mfma_f32_16x16x32_fp8_fp8 v[100:103], a[98:99], v[14:15], v[100:103]// 000000004354: D3F30064 0D921D62
	buffer_load_dwordx4 a[128:131], v236, s[16:19], 0 offen    // 00000000435C: E05C1000 808480EC
	v_mfma_f32_16x16x32_fp8_fp8 v[104:107], a[114:115], v[14:15], v[104:107]// 000000004364: D3F30068 0DA21D72
	s_waitcnt lgkmcnt(8)                                       // 00000000436C: BF8CC87F
	v_mfma_f32_16x16x32_fp8_fp8 v[100:103], a[100:101], v[16:17], v[100:103]// 000000004370: D3F30064 0D922164
	v_mfma_f32_16x16x32_fp8_fp8 v[104:107], a[116:117], v[16:17], v[104:107]// 000000004378: D3F30068 0DA22174
	v_mfma_f32_16x16x32_fp8_fp8 v[100:103], a[102:103], v[18:19], v[100:103]// 000000004380: D3F30064 0D922566
	buffer_load_dwordx4 a[132:135], v237, s[16:19], 0 offen    // 000000004388: E05C1000 808484ED
	v_mfma_f32_16x16x32_fp8_fp8 v[104:107], a[118:119], v[18:19], v[104:107]// 000000004390: D3F30068 0DA22576
	s_waitcnt lgkmcnt(7)                                       // 000000004398: BF8CC77F
	v_mfma_f32_16x16x32_fp8_fp8 v[108:111], a[88:89], v[20:21], 0// 00000000439C: D3F3006C 0A022958
	v_mfma_f32_16x16x32_fp8_fp8 v[112:115], a[104:105], v[20:21], 0// 0000000043A4: D3F30070 0A022968
	v_mfma_f32_16x16x32_fp8_fp8 v[108:111], a[90:91], v[22:23], v[108:111]// 0000000043AC: D3F3006C 0DB22D5A
	buffer_load_dwordx4 a[136:139], v234, s[16:19], 0 offen offset:1024// 0000000043B4: E05C1400 808488EA
	v_mfma_f32_16x16x32_fp8_fp8 v[112:115], a[106:107], v[22:23], v[112:115]// 0000000043BC: D3F30070 0DC22D6A
	s_waitcnt lgkmcnt(6)                                       // 0000000043C4: BF8CC67F
	v_mfma_f32_16x16x32_fp8_fp8 v[108:111], a[92:93], v[24:25], v[108:111]// 0000000043C8: D3F3006C 0DB2315C
	v_mfma_f32_16x16x32_fp8_fp8 v[112:115], a[108:109], v[24:25], v[112:115]// 0000000043D0: D3F30070 0DC2316C
	v_mfma_f32_16x16x32_fp8_fp8 v[108:111], a[94:95], v[26:27], v[108:111]// 0000000043D8: D3F3006C 0DB2355E
	buffer_load_dwordx4 a[140:143], v235, s[16:19], 0 offen offset:1024// 0000000043E0: E05C1400 80848CEB
	v_mfma_f32_16x16x32_fp8_fp8 v[112:115], a[110:111], v[26:27], v[112:115]// 0000000043E8: D3F30070 0DC2356E
	s_waitcnt lgkmcnt(5)                                       // 0000000043F0: BF8CC57F
	v_mfma_f32_16x16x32_fp8_fp8 v[108:111], a[96:97], v[28:29], v[108:111]// 0000000043F4: D3F3006C 0DB23960
	v_mfma_f32_16x16x32_fp8_fp8 v[112:115], a[112:113], v[28:29], v[112:115]// 0000000043FC: D3F30070 0DC23970
	v_mfma_f32_16x16x32_fp8_fp8 v[108:111], a[98:99], v[30:31], v[108:111]// 000000004404: D3F3006C 0DB23D62
	buffer_load_dwordx4 a[144:147], v236, s[16:19], 0 offen offset:1024// 00000000440C: E05C1400 808490EC
	v_mfma_f32_16x16x32_fp8_fp8 v[112:115], a[114:115], v[30:31], v[112:115]// 000000004414: D3F30070 0DC23D72
	s_waitcnt lgkmcnt(4)                                       // 00000000441C: BF8CC47F
	v_mfma_f32_16x16x32_fp8_fp8 v[108:111], a[100:101], v[32:33], v[108:111]// 000000004420: D3F3006C 0DB24164
	v_mfma_f32_16x16x32_fp8_fp8 v[112:115], a[116:117], v[32:33], v[112:115]// 000000004428: D3F30070 0DC24174
	v_mfma_f32_16x16x32_fp8_fp8 v[108:111], a[102:103], v[34:35], v[108:111]// 000000004430: D3F3006C 0DB24566
	buffer_load_dwordx4 a[148:151], v237, s[16:19], 0 offen offset:1024// 000000004438: E05C1400 808494ED
	v_mfma_f32_16x16x32_fp8_fp8 v[112:115], a[118:119], v[34:35], v[112:115]// 000000004440: D3F30070 0DC24576
	s_waitcnt lgkmcnt(3)                                       // 000000004448: BF8CC37F
	v_mfma_f32_16x16x32_fp8_fp8 v[116:119], a[88:89], v[36:37], 0// 00000000444C: D3F30074 0A024958
	v_mfma_f32_16x16x32_fp8_fp8 v[120:123], a[104:105], v[36:37], 0// 000000004454: D3F30078 0A024968
	v_mfma_f32_16x16x32_fp8_fp8 v[116:119], a[90:91], v[38:39], v[116:119]// 00000000445C: D3F30074 0DD24D5A
	v_mfma_f32_16x16x32_fp8_fp8 v[120:123], a[106:107], v[38:39], v[120:123]// 000000004464: D3F30078 0DE24D6A
	s_waitcnt lgkmcnt(2)                                       // 00000000446C: BF8CC27F
	v_mfma_f32_16x16x32_fp8_fp8 v[116:119], a[92:93], v[40:41], v[116:119]// 000000004470: D3F30074 0DD2515C
	v_mfma_f32_16x16x32_fp8_fp8 v[120:123], a[108:109], v[40:41], v[120:123]// 000000004478: D3F30078 0DE2516C
	v_mfma_f32_16x16x32_fp8_fp8 v[116:119], a[94:95], v[42:43], v[116:119]// 000000004480: D3F30074 0DD2555E
	v_mfma_f32_16x16x32_fp8_fp8 v[120:123], a[110:111], v[42:43], v[120:123]// 000000004488: D3F30078 0DE2556E
	s_waitcnt lgkmcnt(1)                                       // 000000004490: BF8CC17F
	v_mfma_f32_16x16x32_fp8_fp8 v[116:119], a[96:97], v[44:45], v[116:119]// 000000004494: D3F30074 0DD25960
	v_mfma_f32_16x16x32_fp8_fp8 v[120:123], a[112:113], v[44:45], v[120:123]// 00000000449C: D3F30078 0DE25970
	v_mfma_f32_16x16x32_fp8_fp8 v[116:119], a[98:99], v[46:47], v[116:119]// 0000000044A4: D3F30074 0DD25D62
	v_mfma_f32_16x16x32_fp8_fp8 v[120:123], a[114:115], v[46:47], v[120:123]// 0000000044AC: D3F30078 0DE25D72
	s_waitcnt lgkmcnt(0)                                       // 0000000044B4: BF8CC07F
	v_mfma_f32_16x16x32_fp8_fp8 v[116:119], a[100:101], v[48:49], v[116:119]// 0000000044B8: D3F30074 0DD26164
	v_mfma_f32_16x16x32_fp8_fp8 v[120:123], a[116:117], v[48:49], v[120:123]// 0000000044C0: D3F30078 0DE26174
	v_mfma_f32_16x16x32_fp8_fp8 v[116:119], a[102:103], v[50:51], v[116:119]// 0000000044C8: D3F30074 0DD26566
	v_mfma_f32_16x16x32_fp8_fp8 v[120:123], a[118:119], v[50:51], v[120:123]// 0000000044D0: D3F30078 0DE26576
	s_load_dword s59, s[42:43], s68                            // 0000000044D8: C0000ED5 00000044
	s_addk_i32 s64, 0x100                                      // 0000000044E0: B7400100
	s_cmp_lt_i32 s64, s63                                      // 0000000044E4: BF043F40
	s_cbranch_scc0 label_276C                                  // 0000000044E8: BF841FB1
	s_waitcnt vmcnt(10)                                        // 0000000044EC: BF8C0F7A
	v_mfma_f32_16x16x32_fp8_fp8 v[4:7], a[56:57], a[0:1], 0    // 0000000044F0: D3F30004 1A020138
	s_add_u32 s12, s86, s69                                    // 0000000044F8: 800C4556
	s_addc_u32 s13, s87, 0                                     // 0000000044FC: 820D8057
	v_mfma_f32_16x16x32_fp8_fp8 v[4:7], a[58:59], a[2:3], v[4:7]// 000000004500: D3F30004 1C12053A
	s_add_u32 s16, s88, s70                                    // 000000004508: 80104658
	s_addc_u32 s17, s89, 0                                     // 00000000450C: 82118059
	v_mfma_f32_16x16x32_fp8_fp8 v[4:7], a[60:61], a[4:5], v[4:7]// 000000004510: D3F30004 1C12093C
	buffer_load_dwordx4 a[24:27], v232, s[12:15], 0 offen      // 000000004518: E05C1000 808318E8
	v_mfma_f32_16x16x32_fp8_fp8 v[4:7], a[62:63], a[6:7], v[4:7]// 000000004520: D3F30004 1C120D3E
	s_add_u32 s20, s90, s71                                    // 000000004528: 8014475A
	s_addc_u32 s21, s91, 0                                     // 00000000452C: 8215805B
	v_mfma_f32_16x16x32_fp8_fp8 v[8:11], a[64:65], a[0:1], 0   // 000000004530: D3F30008 1A020140
	s_add_u32 s24, s92, s71                                    // 000000004538: 8018475C
	s_addc_u32 s25, s93, 0                                     // 00000000453C: 8219805D
	v_mfma_f32_16x16x32_fp8_fp8 v[8:11], a[66:67], a[2:3], v[8:11]// 000000004540: D3F30008 1C220542
	s_add_u32 s69, s69, 0x1000                                 // 000000004548: 8045FF45 00001000
	s_add_u32 s70, s70, 0x8000                                 // 000000004550: 8046FF46 00008000
	v_mfma_f32_16x16x32_fp8_fp8 v[8:11], a[68:69], a[4:5], v[8:11]// 000000004558: D3F30008 1C220944
	buffer_load_dwordx4 a[28:31], v233, s[12:15], 0 offen      // 000000004560: E05C1000 80831CE9
	v_mfma_f32_16x16x32_fp8_fp8 v[8:11], a[70:71], a[6:7], v[8:11]// 000000004568: D3F30008 1C220D46
	v_mfma_f32_16x16x32_fp8_fp8 v[12:15], a[72:73], a[0:1], 0  // 000000004570: D3F3000C 1A020148
	v_mfma_f32_16x16x32_fp8_fp8 v[12:15], a[74:75], a[2:3], v[12:15]// 000000004578: D3F3000C 1C32054A
	v_mfma_f32_16x16x32_fp8_fp8 v[12:15], a[76:77], a[4:5], v[12:15]// 000000004580: D3F3000C 1C32094C
	buffer_load_dwordx4 a[32:35], v232, s[12:15], 0 offen offset:1024// 000000004588: E05C1400 808320E8
	v_mfma_f32_16x16x32_fp8_fp8 v[12:15], a[78:79], a[6:7], v[12:15]// 000000004590: D3F3000C 1C320D4E
	v_mfma_f32_16x16x32_fp8_fp8 v[16:19], a[80:81], a[0:1], 0  // 000000004598: D3F30010 1A020150
	v_mfma_f32_16x16x32_fp8_fp8 v[16:19], a[82:83], a[2:3], v[16:19]// 0000000045A0: D3F30010 1C420552
	v_mfma_f32_16x16x32_fp8_fp8 v[16:19], a[84:85], a[4:5], v[16:19]// 0000000045A8: D3F30010 1C420954
	buffer_load_dwordx4 a[36:39], v233, s[12:15], 0 offen offset:1024// 0000000045B0: E05C1400 808324E9
	v_mfma_f32_16x16x32_fp8_fp8 v[16:19], a[86:87], a[6:7], v[16:19]// 0000000045B8: D3F30010 1C420D56
	v_mfma_f32_16x16x32_fp8_fp8 v[20:23], a[56:57], a[8:9], 0  // 0000000045C0: D3F30014 1A021138
	v_mfma_f32_16x16x32_fp8_fp8 v[20:23], a[58:59], a[10:11], v[20:23]// 0000000045C8: D3F30014 1C52153A
	v_mfma_f32_16x16x32_fp8_fp8 v[20:23], a[60:61], a[12:13], v[20:23]// 0000000045D0: D3F30014 1C52193C
	buffer_load_dwordx4 a[40:43], v232, s[12:15], 0 offen offset:2048// 0000000045D8: E05C1800 808328E8
	v_mfma_f32_16x16x32_fp8_fp8 v[20:23], a[62:63], a[14:15], v[20:23]// 0000000045E0: D3F30014 1C521D3E
	v_mfma_f32_16x16x32_fp8_fp8 v[24:27], a[64:65], a[8:9], 0  // 0000000045E8: D3F30018 1A021140
	v_mfma_f32_16x16x32_fp8_fp8 v[24:27], a[66:67], a[10:11], v[24:27]// 0000000045F0: D3F30018 1C621542
	v_mfma_f32_16x16x32_fp8_fp8 v[24:27], a[68:69], a[12:13], v[24:27]// 0000000045F8: D3F30018 1C621944
	buffer_load_dwordx4 a[44:47], v233, s[12:15], 0 offen offset:2048// 000000004600: E05C1800 80832CE9
	v_mfma_f32_16x16x32_fp8_fp8 v[24:27], a[70:71], a[14:15], v[24:27]// 000000004608: D3F30018 1C621D46
	v_mfma_f32_16x16x32_fp8_fp8 v[28:31], a[72:73], a[8:9], 0  // 000000004610: D3F3001C 1A021148
	v_mfma_f32_16x16x32_fp8_fp8 v[28:31], a[74:75], a[10:11], v[28:31]// 000000004618: D3F3001C 1C72154A
	v_mfma_f32_16x16x32_fp8_fp8 v[28:31], a[76:77], a[12:13], v[28:31]// 000000004620: D3F3001C 1C72194C
	buffer_load_dwordx4 a[48:51], v232, s[12:15], 0 offen offset:3072// 000000004628: E05C1C00 808330E8
	v_mfma_f32_16x16x32_fp8_fp8 v[28:31], a[78:79], a[14:15], v[28:31]// 000000004630: D3F3001C 1C721D4E
	v_mfma_f32_16x16x32_fp8_fp8 v[32:35], a[80:81], a[8:9], 0  // 000000004638: D3F30020 1A021150
	v_mfma_f32_16x16x32_fp8_fp8 v[32:35], a[82:83], a[10:11], v[32:35]// 000000004640: D3F30020 1C821552
	v_mfma_f32_16x16x32_fp8_fp8 v[32:35], a[84:85], a[12:13], v[32:35]// 000000004648: D3F30020 1C821954
	buffer_load_dwordx4 a[52:55], v233, s[12:15], 0 offen offset:3072// 000000004650: E05C1C00 808334E9
	v_mfma_f32_16x16x32_fp8_fp8 v[32:35], a[86:87], a[14:15], v[32:35]// 000000004658: D3F30020 1C821D56
	v_mfma_f32_16x16x32_fp8_fp8 v[36:39], a[56:57], a[16:17], 0// 000000004660: D3F30024 1A022138
	v_mfma_f32_16x16x32_fp8_fp8 v[36:39], a[58:59], a[18:19], v[36:39]// 000000004668: D3F30024 1C92253A
	v_mfma_f32_16x16x32_fp8_fp8 v[36:39], a[60:61], a[20:21], v[36:39]// 000000004670: D3F30024 1C92293C
	v_mfma_f32_16x16x32_fp8_fp8 v[36:39], a[62:63], a[22:23], v[36:39]// 000000004678: D3F30024 1C922D3E
	v_mfma_f32_16x16x32_fp8_fp8 v[40:43], a[64:65], a[16:17], 0// 000000004680: D3F30028 1A022140
	v_mfma_f32_16x16x32_fp8_fp8 v[40:43], a[66:67], a[18:19], v[40:43]// 000000004688: D3F30028 1CA22542
	v_mfma_f32_16x16x32_fp8_fp8 v[40:43], a[68:69], a[20:21], v[40:43]// 000000004690: D3F30028 1CA22944
	v_mfma_f32_16x16x32_fp8_fp8 v[40:43], a[70:71], a[22:23], v[40:43]// 000000004698: D3F30028 1CA22D46
	v_mfma_f32_16x16x32_fp8_fp8 v[44:47], a[72:73], a[16:17], 0// 0000000046A0: D3F3002C 1A022148
	v_mfma_f32_16x16x32_fp8_fp8 v[44:47], a[74:75], a[18:19], v[44:47]// 0000000046A8: D3F3002C 1CB2254A
	v_mfma_f32_16x16x32_fp8_fp8 v[44:47], a[76:77], a[20:21], v[44:47]// 0000000046B0: D3F3002C 1CB2294C
	v_mfma_f32_16x16x32_fp8_fp8 v[44:47], a[78:79], a[22:23], v[44:47]// 0000000046B8: D3F3002C 1CB22D4E
	v_mfma_f32_16x16x32_fp8_fp8 v[48:51], a[80:81], a[16:17], 0// 0000000046C0: D3F30030 1A022150
	v_mfma_f32_16x16x32_fp8_fp8 v[48:51], a[82:83], a[18:19], v[48:51]// 0000000046C8: D3F30030 1CC22552
	v_mfma_f32_16x16x32_fp8_fp8 v[48:51], a[84:85], a[20:21], v[48:51]// 0000000046D0: D3F30030 1CC22954
	v_mfma_f32_16x16x32_fp8_fp8 v[48:51], a[86:87], a[22:23], v[48:51]// 0000000046D8: D3F30030 1CC22D56
	s_waitcnt vmcnt(16)                                        // 0000000046E0: BF8C4F70
	v_or_b32_dpp v36, v44, v36 row_shr:8 row_mask:0xf bank_mask:0xf bound_ctrl:1// 0000000046E4: 284848FA FF09182C
	v_or_b32_dpp v37, v45, v37 row_shr:8 row_mask:0xf bank_mask:0xf bound_ctrl:1// 0000000046EC: 284A4AFA FF09182D
	v_or_b32_dpp v38, v46, v38 row_shr:8 row_mask:0xf bank_mask:0xf bound_ctrl:1// 0000000046F4: 284C4CFA FF09182E
	v_or_b32_dpp v39, v47, v39 row_shr:8 row_mask:0xf bank_mask:0xf bound_ctrl:1// 0000000046FC: 284E4EFA FF09182F
	v_or_b32_dpp v40, v48, v40 row_shr:8 row_mask:0xf bank_mask:0xf bound_ctrl:1// 000000004704: 285050FA FF091830
	v_or_b32_dpp v41, v49, v41 row_shr:8 row_mask:0xf bank_mask:0xf bound_ctrl:1// 00000000470C: 285252FA FF091831
	v_or_b32_dpp v42, v50, v42 row_shr:8 row_mask:0xf bank_mask:0xf bound_ctrl:1// 000000004714: 285454FA FF091832
	v_or_b32_dpp v43, v51, v43 row_shr:8 row_mask:0xf bank_mask:0xf bound_ctrl:1// 00000000471C: 285656FA FF091833
	v_pk_mul_f32 v[4:5], v[148:149], v[4:5]                    // 000000004724: D3B14004 18020994
	v_pk_mul_f32 v[6:7], v[148:149], v[6:7]                    // 00000000472C: D3B14006 18020D94
	v_pk_mul_f32 v[8:9], v[148:149], v[8:9]                    // 000000004734: D3B14008 18021194
	v_pk_mul_f32 v[10:11], v[148:149], v[10:11]                // 00000000473C: D3B1400A 18021594
	v_pk_mul_f32 v[12:13], v[148:149], v[12:13]                // 000000004744: D3B1400C 18021994
	v_pk_mul_f32 v[14:15], v[148:149], v[14:15]                // 00000000474C: D3B1400E 18021D94
	v_pk_mul_f32 v[16:17], v[148:149], v[16:17]                // 000000004754: D3B14010 18022194
	v_pk_mul_f32 v[18:19], v[148:149], v[18:19]                // 00000000475C: D3B14012 18022594
	v_mul_f32_e32 v4, v155, v4                                 // 000000004764: 0A08099B
	v_mul_f32_e32 v5, v155, v5                                 // 000000004768: 0A0A0B9B
	v_mul_f32_e32 v6, v155, v6                                 // 00000000476C: 0A0C0D9B
	v_mul_f32_e32 v7, v155, v7                                 // 000000004770: 0A0E0F9B
	v_mul_f32_e32 v8, v155, v8                                 // 000000004774: 0A10119B
	v_mul_f32_e32 v9, v155, v9                                 // 000000004778: 0A12139B
	v_mul_f32_e32 v10, v155, v10                               // 00000000477C: 0A14159B
	v_mul_f32_e32 v11, v155, v11                               // 000000004780: 0A16179B
	v_mul_f32_e32 v12, v155, v12                               // 000000004784: 0A18199B
	v_mul_f32_e32 v13, v155, v13                               // 000000004788: 0A1A1B9B
	v_mul_f32_e32 v14, v155, v14                               // 00000000478C: 0A1C1D9B
	v_mul_f32_e32 v15, v155, v15                               // 000000004790: 0A1E1F9B
	v_mul_f32_e32 v16, v155, v16                               // 000000004794: 0A20219B
	v_mul_f32_e32 v17, v155, v17                               // 000000004798: 0A22239B
	v_mul_f32_e32 v18, v155, v18                               // 00000000479C: 0A24259B
	v_mul_f32_e32 v19, v155, v19                               // 0000000047A0: 0A26279B
	v_pk_mul_f32 v[20:21], v[150:151], v[20:21]                // 0000000047A4: D3B14014 18022996
	v_pk_mul_f32 v[22:23], v[150:151], v[22:23]                // 0000000047AC: D3B14016 18022D96
	v_pk_mul_f32 v[24:25], v[150:151], v[24:25]                // 0000000047B4: D3B14018 18023196
	v_pk_mul_f32 v[26:27], v[150:151], v[26:27]                // 0000000047BC: D3B1401A 18023596
	v_pk_mul_f32 v[28:29], v[150:151], v[28:29]                // 0000000047C4: D3B1401C 18023996
	v_pk_mul_f32 v[30:31], v[150:151], v[30:31]                // 0000000047CC: D3B1401E 18023D96
	v_pk_mul_f32 v[32:33], v[150:151], v[32:33]                // 0000000047D4: D3B14020 18024196
	v_pk_mul_f32 v[34:35], v[150:151], v[34:35]                // 0000000047DC: D3B14022 18024596
	v_mul_f32_e32 v20, v155, v20                               // 0000000047E4: 0A28299B
	v_mul_f32_e32 v21, v155, v21                               // 0000000047E8: 0A2A2B9B
	v_mul_f32_e32 v22, v155, v22                               // 0000000047EC: 0A2C2D9B
	v_mul_f32_e32 v23, v155, v23                               // 0000000047F0: 0A2E2F9B
	v_mul_f32_e32 v24, v155, v24                               // 0000000047F4: 0A30319B
	v_mul_f32_e32 v25, v155, v25                               // 0000000047F8: 0A32339B
	v_mul_f32_e32 v26, v155, v26                               // 0000000047FC: 0A34359B
	v_mul_f32_e32 v27, v155, v27                               // 000000004800: 0A36379B
	v_mul_f32_e32 v28, v155, v28                               // 000000004804: 0A38399B
	v_mul_f32_e32 v29, v155, v29                               // 000000004808: 0A3A3B9B
	v_mul_f32_e32 v30, v155, v30                               // 00000000480C: 0A3C3D9B
	v_mul_f32_e32 v31, v155, v31                               // 000000004810: 0A3E3F9B
	v_mul_f32_e32 v32, v155, v32                               // 000000004814: 0A40419B
	v_mul_f32_e32 v33, v155, v33                               // 000000004818: 0A42439B
	v_mul_f32_e32 v34, v155, v34                               // 00000000481C: 0A44459B
	v_mul_f32_e32 v35, v155, v35                               // 000000004820: 0A46479B
	v_pk_mul_f32 v[36:37], v[152:153], v[36:37]                // 000000004824: D3B14024 18024998
	v_pk_mul_f32 v[38:39], v[152:153], v[38:39]                // 00000000482C: D3B14026 18024D98
	v_pk_mul_f32 v[40:41], v[152:153], v[40:41]                // 000000004834: D3B14028 18025198
	v_pk_mul_f32 v[42:43], v[152:153], v[42:43]                // 00000000483C: D3B1402A 18025598
	v_mul_f32_e32 v36, v155, v36                               // 000000004844: 0A48499B
	v_mul_f32_e32 v37, v155, v37                               // 000000004848: 0A4A4B9B
	v_mul_f32_e32 v38, v155, v38                               // 00000000484C: 0A4C4D9B
	v_mul_f32_e32 v39, v155, v39                               // 000000004850: 0A4E4F9B
	v_mul_f32_e32 v40, v155, v40                               // 000000004854: 0A50519B
	v_mul_f32_e32 v41, v155, v41                               // 000000004858: 0A52539B
	v_mul_f32_e32 v42, v155, v42                               // 00000000485C: 0A54559B
	v_mul_f32_e32 v43, v155, v43                               // 000000004860: 0A56579B
	v_mov_b32_e32 v190, v36                                    // 000000004864: 7F7C0324
	v_max3_f32 v190, v36, v37, v190                            // 000000004868: D1D300BE 06FA4B24
	v_max3_f32 v190, v38, v39, v190                            // 000000004870: D1D300BE 06FA4F26
	v_max3_f32 v190, v40, v41, v190                            // 000000004878: D1D300BE 06FA5328
	v_max3_f32 v190, v42, v43, v190                            // 000000004880: D1D300BE 06FA572A
	v_mov_b32_e32 v189, v20                                    // 000000004888: 7F7A0314
	v_max3_f32 v189, v20, v21, v189                            // 00000000488C: D1D300BD 06F62B14
	v_max3_f32 v189, v22, v23, v189                            // 000000004894: D1D300BD 06F62F16
	v_max3_f32 v189, v24, v25, v189                            // 00000000489C: D1D300BD 06F63318
	v_max3_f32 v189, v26, v27, v189                            // 0000000048A4: D1D300BD 06F6371A
	v_max3_f32 v189, v28, v29, v189                            // 0000000048AC: D1D300BD 06F63B1C
	v_max3_f32 v189, v30, v31, v189                            // 0000000048B4: D1D300BD 06F63F1E
	v_max3_f32 v189, v32, v33, v189                            // 0000000048BC: D1D300BD 06F64320
	v_max3_f32 v189, v34, v35, v189                            // 0000000048C4: D1D300BD 06F64722
	v_mov_b32_e32 v188, v4                                     // 0000000048CC: 7F780304
	v_max3_f32 v188, v4, v5, v188                              // 0000000048D0: D1D300BC 06F20B04
	v_max3_f32 v188, v6, v7, v188                              // 0000000048D8: D1D300BC 06F20F06
	v_max3_f32 v188, v8, v9, v188                              // 0000000048E0: D1D300BC 06F21308
	v_max3_f32 v188, v10, v11, v188                            // 0000000048E8: D1D300BC 06F2170A
	v_max3_f32 v188, v12, v13, v188                            // 0000000048F0: D1D300BC 06F21B0C
	v_max3_f32 v188, v14, v15, v188                            // 0000000048F8: D1D300BC 06F21F0E
	v_max3_f32 v188, v16, v17, v188                            // 000000004900: D1D300BC 06F22310
	v_max3_f32 v188, v18, v19, v188                            // 000000004908: D1D300BC 06F22712
	v_max_f32_dpp v190, v190, v190 row_ror:8 row_mask:0xf bank_mask:0xf// 000000004910: 177D7CFA FF0128BE
	ds_bpermute_b32 v172, v212, v188                           // 000000004918: D87E0000 AC00BCD4
	ds_bpermute_b32 v173, v213, v188                           // 000000004920: D87E0000 AD00BCD5
	ds_bpermute_b32 v174, v214, v188                           // 000000004928: D87E0000 AE00BCD6
	ds_bpermute_b32 v175, v212, v189                           // 000000004930: D87E0000 AF00BDD4
	ds_bpermute_b32 v176, v213, v189                           // 000000004938: D87E0000 B000BDD5
	ds_bpermute_b32 v177, v214, v189                           // 000000004940: D87E0000 B100BDD6
	ds_bpermute_b32 v178, v212, v190                           // 000000004948: D87E0000 B200BED4
	ds_bpermute_b32 v179, v213, v190                           // 000000004950: D87E0000 B300BED5
	ds_bpermute_b32 v180, v214, v190                           // 000000004958: D87E0000 B400BED6
	v_pk_mul_f32 v[124:125], v[200:201], v[124:125]            // 000000004960: D3B1407C 1802F9C8
	v_pk_mul_f32 v[126:127], v[200:201], v[126:127]            // 000000004968: D3B1407E 1802FDC8
	v_pk_mul_f32 v[128:129], v[200:201], v[128:129]            // 000000004970: D3B14080 180301C8
	v_pk_mul_f32 v[130:131], v[200:201], v[130:131]            // 000000004978: D3B14082 180305C8
	v_pk_mul_f32 v[132:133], v[202:203], v[132:133]            // 000000004980: D3B14084 180309CA
	v_pk_mul_f32 v[134:135], v[202:203], v[134:135]            // 000000004988: D3B14086 18030DCA
	v_pk_mul_f32 v[136:137], v[202:203], v[136:137]            // 000000004990: D3B14088 180311CA
	v_pk_mul_f32 v[138:139], v[202:203], v[138:139]            // 000000004998: D3B1408A 180315CA
	v_pk_mul_f32 v[140:141], v[204:205], v[140:141]            // 0000000049A0: D3B1408C 180319CC
	v_pk_mul_f32 v[142:143], v[204:205], v[142:143]            // 0000000049A8: D3B1408E 18031DCC
	v_pk_mul_f32 v[144:145], v[204:205], v[144:145]            // 0000000049B0: D3B14090 180321CC
	v_pk_mul_f32 v[146:147], v[204:205], v[146:147]            // 0000000049B8: D3B14092 180325CC
	s_waitcnt lgkmcnt(6)                                       // 0000000049C0: BF8CC67F
	v_max3_f32 v188, v172, v173, v188                          // 0000000049C4: D1D300BC 06F35BAC
	v_max_f32_e32 v188, v174, v188                             // 0000000049CC: 177979AE
	s_waitcnt lgkmcnt(3)                                       // 0000000049D0: BF8CC37F
	v_max3_f32 v189, v175, v176, v189                          // 0000000049D4: D1D300BD 06F761AF
	v_max_f32_e32 v189, v177, v189                             // 0000000049DC: 177B7BB1
	s_waitcnt lgkmcnt(0)                                       // 0000000049E0: BF8CC07F
	v_max3_f32 v190, v178, v179, v190                          // 0000000049E4: D1D300BE 06FB67B2
	v_max_f32_e32 v190, v180, v190                             // 0000000049EC: 177D7DB4
	ds_write_b128 v252, v[188:191]                             // 0000000049F0: D9BE0000 0000BCFC
	s_waitcnt lgkmcnt(0)                                       // 0000000049F8: BF8CC07F
	s_barrier                                                  // 0000000049FC: BF8A0000
	ds_read_b128 v[172:175], v253                              // 000000004A00: D9FE0000 AC0000FD
	ds_read_b128 v[176:179], v253 offset:256                   // 000000004A08: D9FE0100 B00000FD
	ds_read_b128 v[180:183], v253 offset:512                   // 000000004A10: D9FE0200 B40000FD
	ds_read_b128 v[184:187], v253 offset:768                   // 000000004A18: D9FE0300 B80000FD
	v_pk_mul_f32 v[100:101], v[158:159], v[100:101]            // 000000004A20: D3B14064 1802C99E
	v_pk_mul_f32 v[102:103], v[158:159], v[102:103]            // 000000004A28: D3B14066 1802CD9E
	v_pk_mul_f32 v[104:105], v[158:159], v[104:105]            // 000000004A30: D3B14068 1802D19E
	v_pk_mul_f32 v[106:107], v[158:159], v[106:107]            // 000000004A38: D3B1406A 1802D59E
	v_pk_mul_f32 v[108:109], v[160:161], v[108:109]            // 000000004A40: D3B1406C 1802D9A0
	v_pk_mul_f32 v[110:111], v[160:161], v[110:111]            // 000000004A48: D3B1406E 1802DDA0
	v_pk_mul_f32 v[112:113], v[160:161], v[112:113]            // 000000004A50: D3B14070 1802E1A0
	v_pk_mul_f32 v[114:115], v[160:161], v[114:115]            // 000000004A58: D3B14072 1802E5A0
	v_pk_mul_f32 v[116:117], v[162:163], v[116:117]            // 000000004A60: D3B14074 1802E9A2
	v_pk_mul_f32 v[118:119], v[162:163], v[118:119]            // 000000004A68: D3B14076 1802EDA2
	v_pk_mul_f32 v[120:121], v[162:163], v[120:121]            // 000000004A70: D3B14078 1802F1A2
	v_pk_mul_f32 v[122:123], v[162:163], v[122:123]            // 000000004A78: D3B1407A 1802F5A2
	s_waitcnt lgkmcnt(0)                                       // 000000004A80: BF8CC07F
	v_max3_f32 v188, v172, v176, v188                          // 000000004A84: D1D300BC 06F361AC
	v_max3_f32 v189, v173, v177, v189                          // 000000004A8C: D1D300BD 06F763AD
	v_max3_f32 v190, v174, v178, v190                          // 000000004A94: D1D300BE 06FB65AE
	v_max3_f32 v188, v180, v184, v188                          // 000000004A9C: D1D300BC 06F371B4
	v_max3_f32 v189, v181, v185, v189                          // 000000004AA4: D1D300BD 06F773B5
	v_max3_f32 v190, v182, v186, v190                          // 000000004AAC: D1D300BE 06FB75B6
	v_max_f32_e32 v197, v188, v194                             // 000000004AB4: 178B85BC
	v_mul_f32_e64 v168, -s46, v197                             // 000000004AB8: D10500A8 20038A2E
	v_mov_b32_e32 v169, v168                                   // 000000004AC0: 7F5203A8
	v_pk_fma_f32 v[4:5], v[4:5], s[46:47], v[168:169]          // 000000004AC4: D3B04004 1EA05D04
	v_pk_fma_f32 v[6:7], v[6:7], s[46:47], v[168:169]          // 000000004ACC: D3B04006 1EA05D06
	v_exp_f32_e32 v4, v4                                       // 000000004AD4: 7E084104
	v_exp_f32_e32 v5, v5                                       // 000000004AD8: 7E0A4105
	v_exp_f32_e32 v6, v6                                       // 000000004ADC: 7E0C4106
	v_exp_f32_e32 v7, v7                                       // 000000004AE0: 7E0E4107
	v_pk_fma_f32 v[8:9], v[8:9], s[46:47], v[168:169]          // 000000004AE4: D3B04008 1EA05D08
	v_pk_fma_f32 v[10:11], v[10:11], s[46:47], v[168:169]      // 000000004AEC: D3B0400A 1EA05D0A
	v_exp_f32_e32 v8, v8                                       // 000000004AF4: 7E104108
	v_exp_f32_e32 v9, v9                                       // 000000004AF8: 7E124109
	v_exp_f32_e32 v10, v10                                     // 000000004AFC: 7E14410A
	v_exp_f32_e32 v11, v11                                     // 000000004B00: 7E16410B
	v_pk_fma_f32 v[12:13], v[12:13], s[46:47], v[168:169]      // 000000004B04: D3B0400C 1EA05D0C
	v_pk_fma_f32 v[14:15], v[14:15], s[46:47], v[168:169]      // 000000004B0C: D3B0400E 1EA05D0E
	v_exp_f32_e32 v12, v12                                     // 000000004B14: 7E18410C
	v_exp_f32_e32 v13, v13                                     // 000000004B18: 7E1A410D
	v_exp_f32_e32 v14, v14                                     // 000000004B1C: 7E1C410E
	v_exp_f32_e32 v15, v15                                     // 000000004B20: 7E1E410F
	v_pk_fma_f32 v[16:17], v[16:17], s[46:47], v[168:169]      // 000000004B24: D3B04010 1EA05D10
	v_pk_fma_f32 v[18:19], v[18:19], s[46:47], v[168:169]      // 000000004B2C: D3B04012 1EA05D12
	v_exp_f32_e32 v16, v16                                     // 000000004B34: 7E204110
	v_exp_f32_e32 v17, v17                                     // 000000004B38: 7E224111
	v_exp_f32_e32 v18, v18                                     // 000000004B3C: 7E244112
	v_exp_f32_e32 v19, v19                                     // 000000004B40: 7E264113
	v_max_f32_e32 v198, v189, v195                             // 000000004B44: 178D87BD
	v_mul_f32_e64 v168, -s46, v198                             // 000000004B48: D10500A8 20038C2E
	v_mov_b32_e32 v169, v168                                   // 000000004B50: 7F5203A8
	v_pk_fma_f32 v[20:21], v[20:21], s[46:47], v[168:169]      // 000000004B54: D3B04014 1EA05D14
	v_pk_fma_f32 v[22:23], v[22:23], s[46:47], v[168:169]      // 000000004B5C: D3B04016 1EA05D16
	v_exp_f32_e32 v20, v20                                     // 000000004B64: 7E284114
	v_exp_f32_e32 v21, v21                                     // 000000004B68: 7E2A4115
	v_exp_f32_e32 v22, v22                                     // 000000004B6C: 7E2C4116
	v_exp_f32_e32 v23, v23                                     // 000000004B70: 7E2E4117
	v_pk_fma_f32 v[24:25], v[24:25], s[46:47], v[168:169]      // 000000004B74: D3B04018 1EA05D18
	v_pk_fma_f32 v[26:27], v[26:27], s[46:47], v[168:169]      // 000000004B7C: D3B0401A 1EA05D1A
	v_exp_f32_e32 v24, v24                                     // 000000004B84: 7E304118
	v_exp_f32_e32 v25, v25                                     // 000000004B88: 7E324119
	v_exp_f32_e32 v26, v26                                     // 000000004B8C: 7E34411A
	v_exp_f32_e32 v27, v27                                     // 000000004B90: 7E36411B
	v_pk_fma_f32 v[28:29], v[28:29], s[46:47], v[168:169]      // 000000004B94: D3B0401C 1EA05D1C
	v_pk_fma_f32 v[30:31], v[30:31], s[46:47], v[168:169]      // 000000004B9C: D3B0401E 1EA05D1E
	v_exp_f32_e32 v28, v28                                     // 000000004BA4: 7E38411C
	v_exp_f32_e32 v29, v29                                     // 000000004BA8: 7E3A411D
	v_exp_f32_e32 v30, v30                                     // 000000004BAC: 7E3C411E
	v_exp_f32_e32 v31, v31                                     // 000000004BB0: 7E3E411F
	v_pk_fma_f32 v[32:33], v[32:33], s[46:47], v[168:169]      // 000000004BB4: D3B04020 1EA05D20
	v_pk_fma_f32 v[34:35], v[34:35], s[46:47], v[168:169]      // 000000004BBC: D3B04022 1EA05D22
	v_exp_f32_e32 v32, v32                                     // 000000004BC4: 7E404120
	v_exp_f32_e32 v33, v33                                     // 000000004BC8: 7E424121
	v_exp_f32_e32 v34, v34                                     // 000000004BCC: 7E444122
	v_exp_f32_e32 v35, v35                                     // 000000004BD0: 7E464123
	v_max_f32_e32 v199, v190, v196                             // 000000004BD4: 178F89BE
	v_mul_f32_e64 v168, -s46, v199                             // 000000004BD8: D10500A8 20038E2E
	v_mov_b32_e32 v169, v168                                   // 000000004BE0: 7F5203A8
	v_pk_fma_f32 v[36:37], v[36:37], s[46:47], v[168:169]      // 000000004BE4: D3B04024 1EA05D24
	v_pk_fma_f32 v[38:39], v[38:39], s[46:47], v[168:169]      // 000000004BEC: D3B04026 1EA05D26
	v_exp_f32_e32 v36, v36                                     // 000000004BF4: 7E484124
	v_exp_f32_e32 v37, v37                                     // 000000004BF8: 7E4A4125
	v_exp_f32_e32 v38, v38                                     // 000000004BFC: 7E4C4126
	v_exp_f32_e32 v39, v39                                     // 000000004C00: 7E4E4127
	v_pk_fma_f32 v[40:41], v[40:41], s[46:47], v[168:169]      // 000000004C04: D3B04028 1EA05D28
	v_pk_fma_f32 v[42:43], v[42:43], s[46:47], v[168:169]      // 000000004C0C: D3B0402A 1EA05D2A
	v_exp_f32_e32 v40, v40                                     // 000000004C14: 7E504128
	v_exp_f32_e32 v41, v41                                     // 000000004C18: 7E524129
	v_exp_f32_e32 v42, v42                                     // 000000004C1C: 7E54412A
	v_exp_f32_e32 v43, v43                                     // 000000004C20: 7E56412B
	v_mul_f32_e32 v52, v157, v4                                // 000000004C24: 0A68099D
	v_mul_f32_e32 v53, v157, v5                                // 000000004C28: 0A6A0B9D
	v_mul_f32_e32 v54, v157, v6                                // 000000004C2C: 0A6C0D9D
	v_mul_f32_e32 v55, v157, v7                                // 000000004C30: 0A6E0F9D
	v_mul_f32_e32 v56, v157, v8                                // 000000004C34: 0A70119D
	v_mul_f32_e32 v57, v157, v9                                // 000000004C38: 0A72139D
	v_mul_f32_e32 v58, v157, v10                               // 000000004C3C: 0A74159D
	v_mul_f32_e32 v59, v157, v11                               // 000000004C40: 0A76179D
	v_mul_f32_e32 v60, v157, v12                               // 000000004C44: 0A78199D
	v_mul_f32_e32 v61, v157, v13                               // 000000004C48: 0A7A1B9D
	v_mul_f32_e32 v62, v157, v14                               // 000000004C4C: 0A7C1D9D
	v_mul_f32_e32 v63, v157, v15                               // 000000004C50: 0A7E1F9D
	v_mul_f32_e32 v64, v157, v16                               // 000000004C54: 0A80219D
	v_mul_f32_e32 v65, v157, v17                               // 000000004C58: 0A82239D
	v_mul_f32_e32 v66, v157, v18                               // 000000004C5C: 0A84259D
	v_mul_f32_e32 v67, v157, v19                               // 000000004C60: 0A86279D
	v_mul_f32_e32 v68, v157, v20                               // 000000004C64: 0A88299D
	v_mul_f32_e32 v69, v157, v21                               // 000000004C68: 0A8A2B9D
	v_mul_f32_e32 v70, v157, v22                               // 000000004C6C: 0A8C2D9D
	v_mul_f32_e32 v71, v157, v23                               // 000000004C70: 0A8E2F9D
	v_mul_f32_e32 v72, v157, v24                               // 000000004C74: 0A90319D
	v_mul_f32_e32 v73, v157, v25                               // 000000004C78: 0A92339D
	v_mul_f32_e32 v74, v157, v26                               // 000000004C7C: 0A94359D
	v_mul_f32_e32 v75, v157, v27                               // 000000004C80: 0A96379D
	v_mul_f32_e32 v76, v157, v28                               // 000000004C84: 0A98399D
	v_mul_f32_e32 v77, v157, v29                               // 000000004C88: 0A9A3B9D
	v_mul_f32_e32 v78, v157, v30                               // 000000004C8C: 0A9C3D9D
	v_mul_f32_e32 v79, v157, v31                               // 000000004C90: 0A9E3F9D
	v_mul_f32_e32 v80, v157, v32                               // 000000004C94: 0AA0419D
	v_mul_f32_e32 v81, v157, v33                               // 000000004C98: 0AA2439D
	v_mul_f32_e32 v82, v157, v34                               // 000000004C9C: 0AA4459D
	v_mul_f32_e32 v83, v157, v35                               // 000000004CA0: 0AA6479D
	v_mul_f32_e32 v84, v157, v36                               // 000000004CA4: 0AA8499D
	v_mul_f32_e32 v85, v157, v37                               // 000000004CA8: 0AAA4B9D
	v_mul_f32_e32 v86, v157, v38                               // 000000004CAC: 0AAC4D9D
	v_mul_f32_e32 v87, v157, v39                               // 000000004CB0: 0AAE4F9D
	v_mul_f32_e32 v88, v157, v40                               // 000000004CB4: 0AB0519D
	v_mul_f32_e32 v89, v157, v41                               // 000000004CB8: 0AB2539D
	v_mul_f32_e32 v90, v157, v42                               // 000000004CBC: 0AB4559D
	v_mul_f32_e32 v91, v157, v43                               // 000000004CC0: 0AB6579D
	buffer_load_dword v154, v238, s[20:23], 0 offen            // 000000004CC4: E0501000 80059AEE
	v_sub_f32_e32 v200, v194, v197                             // 000000004CCC: 05918BC2
	v_cmp_eq_u32_e64 s[98:99], v225, v194                      // 000000004CD0: D0CA0062 000385E1
	v_cndmask_b32_e64 v200, v200, 0, s[98:99]                  // 000000004CD8: D10000C8 018901C8
	v_mov_b32_e32 v194, v197                                   // 000000004CE0: 7F8403C5
	v_mul_f32_e32 v200, s46, v200                              // 000000004CE4: 0B91902E
	v_exp_f32_e32 v200, v200                                   // 000000004CE8: 7F9041C8
	v_sub_f32_e32 v202, v195, v198                             // 000000004CEC: 05958DC3
	v_cmp_eq_u32_e64 s[98:99], v225, v195                      // 000000004CF0: D0CA0062 000387E1
	v_cndmask_b32_e64 v202, v202, 0, s[98:99]                  // 000000004CF8: D10000CA 018901CA
	v_mov_b32_e32 v195, v198                                   // 000000004D00: 7F8603C6
	v_mul_f32_e32 v202, s46, v202                              // 000000004D04: 0B95942E
	v_exp_f32_e32 v202, v202                                   // 000000004D08: 7F9441CA
	v_sub_f32_e32 v204, v196, v199                             // 000000004D0C: 05998FC4
	v_cmp_eq_u32_e64 s[98:99], v225, v196                      // 000000004D10: D0CA0062 000389E1
	v_cndmask_b32_e64 v204, v204, 0, s[98:99]                  // 000000004D18: D10000CC 018901CC
	v_mov_b32_e32 v196, v199                                   // 000000004D20: 7F8803C7
	v_mul_f32_e32 v204, s46, v204                              // 000000004D24: 0B99982E
	v_exp_f32_e32 v204, v204                                   // 000000004D28: 7F9841CC
	v_mov_b32_e32 v201, v200                                   // 000000004D2C: 7F9203C8
	v_mov_b32_e32 v203, v202                                   // 000000004D30: 7F9603CA
	v_mov_b32_e32 v205, v204                                   // 000000004D34: 7F9A03CC
	s_waitcnt lgkmcnt(0)                                       // 000000004D38: BF8CC07F
	s_barrier                                                  // 000000004D3C: BF8A0000
	buffer_load_dword v156, v239, s[24:27], 0 offen            // 000000004D40: E0501000 80069CEF
	v_mul_f32_e32 v206, v200, v206                             // 000000004D48: 0B9D9DC8
	v_mov_b32_e32 v207, 0                                      // 000000004D4C: 7F9E0280
	v_pk_add_f32 v[206:207], v[4:5], v[206:207]                // 000000004D50: D3B240CE 18039D04
	v_pk_add_f32 v[206:207], v[6:7], v[206:207]                // 000000004D58: D3B240CE 18039D06
	v_pk_add_f32 v[206:207], v[8:9], v[206:207]                // 000000004D60: D3B240CE 18039D08
	v_pk_add_f32 v[206:207], v[10:11], v[206:207]              // 000000004D68: D3B240CE 18039D0A
	v_pk_add_f32 v[206:207], v[12:13], v[206:207]              // 000000004D70: D3B240CE 18039D0C
	v_pk_add_f32 v[206:207], v[14:15], v[206:207]              // 000000004D78: D3B240CE 18039D0E
	v_pk_add_f32 v[206:207], v[16:17], v[206:207]              // 000000004D80: D3B240CE 18039D10
	v_pk_add_f32 v[206:207], v[18:19], v[206:207]              // 000000004D88: D3B240CE 18039D12
	v_add_f32_e32 v206, v207, v206                             // 000000004D90: 039D9DCF
	v_mul_f32_e32 v208, v202, v208                             // 000000004D94: 0BA1A1CA
	v_mov_b32_e32 v209, 0                                      // 000000004D98: 7FA20280
	v_pk_add_f32 v[208:209], v[20:21], v[208:209]              // 000000004D9C: D3B240D0 1803A114
	v_pk_add_f32 v[208:209], v[22:23], v[208:209]              // 000000004DA4: D3B240D0 1803A116
	v_pk_add_f32 v[208:209], v[24:25], v[208:209]              // 000000004DAC: D3B240D0 1803A118
	v_pk_add_f32 v[208:209], v[26:27], v[208:209]              // 000000004DB4: D3B240D0 1803A11A
	v_pk_add_f32 v[208:209], v[28:29], v[208:209]              // 000000004DBC: D3B240D0 1803A11C
	v_pk_add_f32 v[208:209], v[30:31], v[208:209]              // 000000004DC4: D3B240D0 1803A11E
	v_pk_add_f32 v[208:209], v[32:33], v[208:209]              // 000000004DCC: D3B240D0 1803A120
	v_pk_add_f32 v[208:209], v[34:35], v[208:209]              // 000000004DD4: D3B240D0 1803A122
	v_add_f32_e32 v208, v209, v208                             // 000000004DDC: 03A1A1D1
	v_mul_f32_e32 v210, v204, v210                             // 000000004DE0: 0BA5A5CC
	v_mov_b32_e32 v211, 0                                      // 000000004DE4: 7FA60280
	v_pk_add_f32 v[210:211], v[36:37], v[210:211]              // 000000004DE8: D3B240D2 1803A524
	v_pk_add_f32 v[210:211], v[38:39], v[210:211]              // 000000004DF0: D3B240D2 1803A526
	v_pk_add_f32 v[210:211], v[40:41], v[210:211]              // 000000004DF8: D3B240D2 1803A528
	v_pk_add_f32 v[210:211], v[42:43], v[210:211]              // 000000004E00: D3B240D2 1803A52A
	v_add_f32_e32 v210, v211, v210                             // 000000004E08: 03A5A5D3
	s_waitcnt lgkmcnt(0)                                       // 000000004E0C: BF8CC07F
	v_sub_f32_e32 v188, v188, v194                             // 000000004E10: 057985BC
	v_sub_f32_e32 v189, v189, v195                             // 000000004E14: 057B87BD
	v_sub_f32_e32 v190, v190, v196                             // 000000004E18: 057D89BE
	v_mul_f32_e32 v188, s46, v188                              // 000000004E1C: 0B79782E
	v_mul_f32_e32 v189, s46, v189                              // 000000004E20: 0B7B7A2E
	v_mul_f32_e32 v190, s46, v190                              // 000000004E24: 0B7D7C2E
	v_exp_f32_e32 v188, v188                                   // 000000004E28: 7F7841BC
	v_exp_f32_e32 v189, v189                                   // 000000004E2C: 7F7A41BD
	v_exp_f32_e32 v190, v190                                   // 000000004E30: 7F7C41BE
	v_mul_f32_e32 v188, v157, v188                             // 000000004E34: 0B79799D
	v_mul_f32_e32 v189, v157, v189                             // 000000004E38: 0B7B7B9D
	v_mul_f32_e32 v190, v157, v190                             // 000000004E3C: 0B7D7D9D
	v_add_f32_e32 v188, 0x3089705f, v188                       // 000000004E40: 037978FF 3089705F
	v_add_f32_e32 v189, 0x3089705f, v189                       // 000000004E48: 037B7AFF 3089705F
	v_add_f32_e32 v190, 0x3089705f, v190                       // 000000004E50: 037D7CFF 3089705F
	v_rcp_f32_e32 v188, v188                                   // 000000004E58: 7F7845BC
	v_rcp_f32_e32 v189, v189                                   // 000000004E5C: 7F7A45BD
	v_rcp_f32_e32 v190, v190                                   // 000000004E60: 7F7C45BE
	v_mul_f32_e32 v188, 0x43700000, v188                       // 000000004E64: 0B7978FF 43700000
	v_mul_f32_e32 v189, 0x43700000, v189                       // 000000004E6C: 0B7B7AFF 43700000
	v_mul_f32_e32 v190, 0x43700000, v190                       // 000000004E74: 0B7D7CFF 43700000
	v_mov_b32_e32 v192, v190                                   // 000000004E7C: 7F8003BE
	v_mov_b32_e32 v193, v190                                   // 000000004E80: 7F8203BE
	v_mov_b32_e32 v190, v189                                   // 000000004E84: 7F7C03BD
	v_mov_b32_e32 v191, v189                                   // 000000004E88: 7F7E03BD
	v_mov_b32_e32 v189, v188                                   // 000000004E8C: 7F7A03BC
	v_pk_mul_f32 v[4:5], v[188:189], v[52:53]                  // 000000004E90: D3B14004 180269BC
	v_pk_mul_f32 v[6:7], v[188:189], v[54:55]                  // 000000004E98: D3B14006 18026DBC
	v_pk_mul_f32 v[8:9], v[188:189], v[56:57]                  // 000000004EA0: D3B14008 180271BC
	v_pk_mul_f32 v[10:11], v[188:189], v[58:59]                // 000000004EA8: D3B1400A 180275BC
	v_pk_mul_f32 v[12:13], v[188:189], v[60:61]                // 000000004EB0: D3B1400C 180279BC
	v_pk_mul_f32 v[14:15], v[188:189], v[62:63]                // 000000004EB8: D3B1400E 18027DBC
	v_pk_mul_f32 v[16:17], v[188:189], v[64:65]                // 000000004EC0: D3B14010 180281BC
	v_pk_mul_f32 v[18:19], v[188:189], v[66:67]                // 000000004EC8: D3B14012 180285BC
	v_pk_mul_f32 v[20:21], v[190:191], v[68:69]                // 000000004ED0: D3B14014 180289BE
	v_pk_mul_f32 v[22:23], v[190:191], v[70:71]                // 000000004ED8: D3B14016 18028DBE
	v_pk_mul_f32 v[24:25], v[190:191], v[72:73]                // 000000004EE0: D3B14018 180291BE
	v_pk_mul_f32 v[26:27], v[190:191], v[74:75]                // 000000004EE8: D3B1401A 180295BE
	v_pk_mul_f32 v[28:29], v[190:191], v[76:77]                // 000000004EF0: D3B1401C 180299BE
	v_pk_mul_f32 v[30:31], v[190:191], v[78:79]                // 000000004EF8: D3B1401E 18029DBE
	v_pk_mul_f32 v[32:33], v[190:191], v[80:81]                // 000000004F00: D3B14020 1802A1BE
	v_pk_mul_f32 v[34:35], v[190:191], v[82:83]                // 000000004F08: D3B14022 1802A5BE
	v_pk_mul_f32 v[36:37], v[192:193], v[84:85]                // 000000004F10: D3B14024 1802A9C0
	v_pk_mul_f32 v[38:39], v[192:193], v[86:87]                // 000000004F18: D3B14026 1802ADC0
	v_pk_mul_f32 v[40:41], v[192:193], v[88:89]                // 000000004F20: D3B14028 1802B1C0
	v_pk_mul_f32 v[42:43], v[192:193], v[90:91]                // 000000004F28: D3B1402A 1802B5C0
	v_cvt_pk_fp8_f32 v4, v4, v5                                // 000000004F30: D2A20004 00020B04
	v_cvt_pk_fp8_f32 v4, v6, v7 op_sel:[0,0,1]                 // 000000004F38: D2A24004 00020F06
	v_cvt_pk_fp8_f32 v5, v8, v9                                // 000000004F40: D2A20005 00021308
	v_cvt_pk_fp8_f32 v5, v10, v11 op_sel:[0,0,1]               // 000000004F48: D2A24005 0002170A
	v_cvt_pk_fp8_f32 v6, v12, v13                              // 000000004F50: D2A20006 00021B0C
	v_cvt_pk_fp8_f32 v6, v14, v15 op_sel:[0,0,1]               // 000000004F58: D2A24006 00021F0E
	v_cvt_pk_fp8_f32 v7, v16, v17                              // 000000004F60: D2A20007 00022310
	v_cvt_pk_fp8_f32 v7, v18, v19 op_sel:[0,0,1]               // 000000004F68: D2A24007 00022712
	v_cvt_pk_fp8_f32 v8, v20, v21                              // 000000004F70: D2A20008 00022B14
	v_cvt_pk_fp8_f32 v8, v22, v23 op_sel:[0,0,1]               // 000000004F78: D2A24008 00022F16
	v_cvt_pk_fp8_f32 v9, v24, v25                              // 000000004F80: D2A20009 00023318
	v_cvt_pk_fp8_f32 v9, v26, v27 op_sel:[0,0,1]               // 000000004F88: D2A24009 0002371A
	v_cvt_pk_fp8_f32 v10, v28, v29                             // 000000004F90: D2A2000A 00023B1C
	v_cvt_pk_fp8_f32 v10, v30, v31 op_sel:[0,0,1]              // 000000004F98: D2A2400A 00023F1E
	v_cvt_pk_fp8_f32 v11, v32, v33                             // 000000004FA0: D2A2000B 00024320
	v_cvt_pk_fp8_f32 v11, v34, v35 op_sel:[0,0,1]              // 000000004FA8: D2A2400B 00024722
	v_cvt_pk_fp8_f32 v12, v36, v37                             // 000000004FB0: D2A2000C 00024B24
	v_cvt_pk_fp8_f32 v12, v38, v39 op_sel:[0,0,1]              // 000000004FB8: D2A2400C 00024F26
	v_cvt_pk_fp8_f32 v13, v40, v41                             // 000000004FC0: D2A2000D 00025328
	v_cvt_pk_fp8_f32 v13, v42, v43 op_sel:[0,0,1]              // 000000004FC8: D2A2400D 0002572A
	v_mov_b32_dpp v14, v12 row_shl:8 row_mask:0xf bank_mask:0xf bound_ctrl:1// 000000004FD0: 7E1C02FA FF09080C
	v_and_b32_e32 v12, v12, v224                               // 000000004FD8: 2619C10C
	v_mov_b32_dpp v15, v13 row_shl:8 row_mask:0xf bank_mask:0xf bound_ctrl:1// 000000004FDC: 7E1E02FA FF09080D
	v_and_b32_e32 v13, v13, v224                               // 000000004FE4: 261BC10D
	ds_write_b32 v254, v4 offset:8192                          // 000000004FE8: D81A2000 000004FE
	ds_write_b32 v254, v5 offset:9216                          // 000000004FF0: D81A2400 000005FE
	ds_write_b32 v254, v6 offset:10240                         // 000000004FF8: D81A2800 000006FE
	ds_write_b32 v254, v7 offset:11264                         // 000000005000: D81A2C00 000007FE
	ds_write_b32 v254, v8 offset:12288                         // 000000005008: D81A3000 000008FE
	ds_write_b32 v254, v9 offset:13312                         // 000000005010: D81A3400 000009FE
	ds_write_b32 v254, v10 offset:14336                        // 000000005018: D81A3800 00000AFE
	ds_write_b32 v254, v11 offset:15360                        // 000000005020: D81A3C00 00000BFE
	ds_write_b32 v254, v12 offset:16384                        // 000000005028: D81A4000 00000CFE
	ds_write_b32 v254, v13 offset:17408                        // 000000005030: D81A4400 00000DFE
	ds_write_b32 v254, v14 offset:18432                        // 000000005038: D81A4800 00000EFE
	ds_write_b32 v254, v15 offset:19456                        // 000000005040: D81A4C00 00000FFE
	v_rcp_f32_e32 v158, v188                                   // 000000005048: 7F3C45BC
	v_rcp_f32_e32 v160, v190                                   // 00000000504C: 7F4045BE
	v_rcp_f32_e32 v162, v192                                   // 000000005050: 7F4445C0
	v_mov_b32_e32 v159, v158                                   // 000000005054: 7F3E039E
	v_mov_b32_e32 v161, v160                                   // 000000005058: 7F4203A0
	v_mov_b32_e32 v163, v162                                   // 00000000505C: 7F4603A2
	v_pk_add_f32 v[124:125], v[124:125], v[100:101]            // 000000005060: D3B2407C 1802C97C
	v_pk_add_f32 v[126:127], v[126:127], v[102:103]            // 000000005068: D3B2407E 1802CD7E
	v_pk_add_f32 v[128:129], v[128:129], v[104:105]            // 000000005070: D3B24080 1802D180
	v_pk_add_f32 v[130:131], v[130:131], v[106:107]            // 000000005078: D3B24082 1802D582
	v_pk_add_f32 v[132:133], v[132:133], v[108:109]            // 000000005080: D3B24084 1802D984
	v_pk_add_f32 v[134:135], v[134:135], v[110:111]            // 000000005088: D3B24086 1802DD86
	v_pk_add_f32 v[136:137], v[136:137], v[112:113]            // 000000005090: D3B24088 1802E188
	v_pk_add_f32 v[138:139], v[138:139], v[114:115]            // 000000005098: D3B2408A 1802E58A
	v_pk_add_f32 v[140:141], v[140:141], v[116:117]            // 0000000050A0: D3B2408C 1802E98C
	v_pk_add_f32 v[142:143], v[142:143], v[118:119]            // 0000000050A8: D3B2408E 1802ED8E
	v_pk_add_f32 v[144:145], v[144:145], v[120:121]            // 0000000050B0: D3B24090 1802F190
	v_pk_add_f32 v[146:147], v[146:147], v[122:123]            // 0000000050B8: D3B24092 1802F592
	s_waitcnt lgkmcnt(0)                                       // 0000000050C0: BF8CC07F
	s_barrier                                                  // 0000000050C4: BF8A0000
	ds_read_b128 v[4:7], v255 offset:8192                      // 0000000050C8: D9FE2000 040000FF
	ds_read_b128 v[8:11], v255 offset:9216                     // 0000000050D0: D9FE2400 080000FF
	ds_read_b128 v[12:15], v255 offset:10240                   // 0000000050D8: D9FE2800 0C0000FF
	ds_read_b128 v[16:19], v255 offset:11264                   // 0000000050E0: D9FE2C00 100000FF
	ds_read_b128 v[20:23], v255 offset:12288                   // 0000000050E8: D9FE3000 140000FF
	ds_read_b128 v[24:27], v255 offset:13312                   // 0000000050F0: D9FE3400 180000FF
	ds_read_b128 v[28:31], v255 offset:14336                   // 0000000050F8: D9FE3800 1C0000FF
	ds_read_b128 v[32:35], v255 offset:15360                   // 000000005100: D9FE3C00 200000FF
	ds_read_b128 v[36:39], v255 offset:16384                   // 000000005108: D9FE4000 240000FF
	ds_read_b128 v[40:43], v255 offset:17408                   // 000000005110: D9FE4400 280000FF
	ds_read_b128 v[44:47], v255 offset:18432                   // 000000005118: D9FE4800 2C0000FF
	ds_read_b128 v[48:51], v255 offset:19456                   // 000000005120: D9FE4C00 300000FF
	s_waitcnt vmcnt(10)                                        // 000000005128: BF8C0F7A
	s_waitcnt lgkmcnt(11)                                      // 00000000512C: BF8CCB7F
	v_mfma_f32_16x16x32_fp8_fp8 v[100:103], a[120:121], v[4:5], 0// 000000005130: D3F30064 0A020978
	v_mfma_f32_16x16x32_fp8_fp8 v[104:107], a[136:137], v[4:5], 0// 000000005138: D3F30068 0A020988
	v_mfma_f32_16x16x32_fp8_fp8 v[100:103], a[122:123], v[6:7], v[100:103]// 000000005140: D3F30064 0D920D7A
	buffer_load_dwordx4 a[88:91], v234, s[16:19], 0 offen      // 000000005148: E05C1000 808458EA
	v_mfma_f32_16x16x32_fp8_fp8 v[104:107], a[138:139], v[6:7], v[104:107]// 000000005150: D3F30068 0DA20D8A
	s_waitcnt lgkmcnt(10)                                      // 000000005158: BF8CCA7F
	v_mfma_f32_16x16x32_fp8_fp8 v[100:103], a[124:125], v[8:9], v[100:103]// 00000000515C: D3F30064 0D92117C
	v_mfma_f32_16x16x32_fp8_fp8 v[104:107], a[140:141], v[8:9], v[104:107]// 000000005164: D3F30068 0DA2118C
	v_mfma_f32_16x16x32_fp8_fp8 v[100:103], a[126:127], v[10:11], v[100:103]// 00000000516C: D3F30064 0D92157E
	buffer_load_dwordx4 a[92:95], v235, s[16:19], 0 offen      // 000000005174: E05C1000 80845CEB
	v_mfma_f32_16x16x32_fp8_fp8 v[104:107], a[142:143], v[10:11], v[104:107]// 00000000517C: D3F30068 0DA2158E
	s_waitcnt lgkmcnt(9)                                       // 000000005184: BF8CC97F
	v_mfma_f32_16x16x32_fp8_fp8 v[100:103], a[128:129], v[12:13], v[100:103]// 000000005188: D3F30064 0D921980
	v_mfma_f32_16x16x32_fp8_fp8 v[104:107], a[144:145], v[12:13], v[104:107]// 000000005190: D3F30068 0DA21990
	v_mfma_f32_16x16x32_fp8_fp8 v[100:103], a[130:131], v[14:15], v[100:103]// 000000005198: D3F30064 0D921D82
	buffer_load_dwordx4 a[96:99], v236, s[16:19], 0 offen      // 0000000051A0: E05C1000 808460EC
	v_mfma_f32_16x16x32_fp8_fp8 v[104:107], a[146:147], v[14:15], v[104:107]// 0000000051A8: D3F30068 0DA21D92
	s_waitcnt lgkmcnt(8)                                       // 0000000051B0: BF8CC87F
	v_mfma_f32_16x16x32_fp8_fp8 v[100:103], a[132:133], v[16:17], v[100:103]// 0000000051B4: D3F30064 0D922184
	v_mfma_f32_16x16x32_fp8_fp8 v[104:107], a[148:149], v[16:17], v[104:107]// 0000000051BC: D3F30068 0DA22194
	v_mfma_f32_16x16x32_fp8_fp8 v[100:103], a[134:135], v[18:19], v[100:103]// 0000000051C4: D3F30064 0D922586
	buffer_load_dwordx4 a[100:103], v237, s[16:19], 0 offen    // 0000000051CC: E05C1000 808464ED
	v_mfma_f32_16x16x32_fp8_fp8 v[104:107], a[150:151], v[18:19], v[104:107]// 0000000051D4: D3F30068 0DA22596
	s_waitcnt lgkmcnt(7)                                       // 0000000051DC: BF8CC77F
	v_mfma_f32_16x16x32_fp8_fp8 v[108:111], a[120:121], v[20:21], 0// 0000000051E0: D3F3006C 0A022978
	v_mfma_f32_16x16x32_fp8_fp8 v[112:115], a[136:137], v[20:21], 0// 0000000051E8: D3F30070 0A022988
	v_mfma_f32_16x16x32_fp8_fp8 v[108:111], a[122:123], v[22:23], v[108:111]// 0000000051F0: D3F3006C 0DB22D7A
	buffer_load_dwordx4 a[104:107], v234, s[16:19], 0 offen offset:1024// 0000000051F8: E05C1400 808468EA
	v_mfma_f32_16x16x32_fp8_fp8 v[112:115], a[138:139], v[22:23], v[112:115]// 000000005200: D3F30070 0DC22D8A
	s_waitcnt lgkmcnt(6)                                       // 000000005208: BF8CC67F
	v_mfma_f32_16x16x32_fp8_fp8 v[108:111], a[124:125], v[24:25], v[108:111]// 00000000520C: D3F3006C 0DB2317C
	v_mfma_f32_16x16x32_fp8_fp8 v[112:115], a[140:141], v[24:25], v[112:115]// 000000005214: D3F30070 0DC2318C
	v_mfma_f32_16x16x32_fp8_fp8 v[108:111], a[126:127], v[26:27], v[108:111]// 00000000521C: D3F3006C 0DB2357E
	buffer_load_dwordx4 a[108:111], v235, s[16:19], 0 offen offset:1024// 000000005224: E05C1400 80846CEB
	v_mfma_f32_16x16x32_fp8_fp8 v[112:115], a[142:143], v[26:27], v[112:115]// 00000000522C: D3F30070 0DC2358E
	s_waitcnt lgkmcnt(5)                                       // 000000005234: BF8CC57F
	v_mfma_f32_16x16x32_fp8_fp8 v[108:111], a[128:129], v[28:29], v[108:111]// 000000005238: D3F3006C 0DB23980
	v_mfma_f32_16x16x32_fp8_fp8 v[112:115], a[144:145], v[28:29], v[112:115]// 000000005240: D3F30070 0DC23990
	v_mfma_f32_16x16x32_fp8_fp8 v[108:111], a[130:131], v[30:31], v[108:111]// 000000005248: D3F3006C 0DB23D82
	buffer_load_dwordx4 a[112:115], v236, s[16:19], 0 offen offset:1024// 000000005250: E05C1400 808470EC
	v_mfma_f32_16x16x32_fp8_fp8 v[112:115], a[146:147], v[30:31], v[112:115]// 000000005258: D3F30070 0DC23D92
	s_waitcnt lgkmcnt(4)                                       // 000000005260: BF8CC47F
	v_mfma_f32_16x16x32_fp8_fp8 v[108:111], a[132:133], v[32:33], v[108:111]// 000000005264: D3F3006C 0DB24184
	v_mfma_f32_16x16x32_fp8_fp8 v[112:115], a[148:149], v[32:33], v[112:115]// 00000000526C: D3F30070 0DC24194
	v_mfma_f32_16x16x32_fp8_fp8 v[108:111], a[134:135], v[34:35], v[108:111]// 000000005274: D3F3006C 0DB24586
	buffer_load_dwordx4 a[116:119], v237, s[16:19], 0 offen offset:1024// 00000000527C: E05C1400 808474ED
	v_mfma_f32_16x16x32_fp8_fp8 v[112:115], a[150:151], v[34:35], v[112:115]// 000000005284: D3F30070 0DC24596
	s_waitcnt lgkmcnt(3)                                       // 00000000528C: BF8CC37F
	v_mfma_f32_16x16x32_fp8_fp8 v[116:119], a[120:121], v[36:37], 0// 000000005290: D3F30074 0A024978
	v_mfma_f32_16x16x32_fp8_fp8 v[120:123], a[136:137], v[36:37], 0// 000000005298: D3F30078 0A024988
	v_mfma_f32_16x16x32_fp8_fp8 v[116:119], a[122:123], v[38:39], v[116:119]// 0000000052A0: D3F30074 0DD24D7A
	v_mfma_f32_16x16x32_fp8_fp8 v[120:123], a[138:139], v[38:39], v[120:123]// 0000000052A8: D3F30078 0DE24D8A
	s_waitcnt lgkmcnt(2)                                       // 0000000052B0: BF8CC27F
	v_mfma_f32_16x16x32_fp8_fp8 v[116:119], a[124:125], v[40:41], v[116:119]// 0000000052B4: D3F30074 0DD2517C
	v_mfma_f32_16x16x32_fp8_fp8 v[120:123], a[140:141], v[40:41], v[120:123]// 0000000052BC: D3F30078 0DE2518C
	v_mfma_f32_16x16x32_fp8_fp8 v[116:119], a[126:127], v[42:43], v[116:119]// 0000000052C4: D3F30074 0DD2557E
	v_mfma_f32_16x16x32_fp8_fp8 v[120:123], a[142:143], v[42:43], v[120:123]// 0000000052CC: D3F30078 0DE2558E
	s_waitcnt lgkmcnt(1)                                       // 0000000052D4: BF8CC17F
	v_mfma_f32_16x16x32_fp8_fp8 v[116:119], a[128:129], v[44:45], v[116:119]// 0000000052D8: D3F30074 0DD25980
	v_mfma_f32_16x16x32_fp8_fp8 v[120:123], a[144:145], v[44:45], v[120:123]// 0000000052E0: D3F30078 0DE25990
	v_mfma_f32_16x16x32_fp8_fp8 v[116:119], a[130:131], v[46:47], v[116:119]// 0000000052E8: D3F30074 0DD25D82
	v_mfma_f32_16x16x32_fp8_fp8 v[120:123], a[146:147], v[46:47], v[120:123]// 0000000052F0: D3F30078 0DE25D92
	s_waitcnt lgkmcnt(0)                                       // 0000000052F8: BF8CC07F
	v_mfma_f32_16x16x32_fp8_fp8 v[116:119], a[132:133], v[48:49], v[116:119]// 0000000052FC: D3F30074 0DD26184
	v_mfma_f32_16x16x32_fp8_fp8 v[120:123], a[148:149], v[48:49], v[120:123]// 000000005304: D3F30078 0DE26194
	v_mfma_f32_16x16x32_fp8_fp8 v[116:119], a[134:135], v[50:51], v[116:119]// 00000000530C: D3F30074 0DD26586
	v_mfma_f32_16x16x32_fp8_fp8 v[120:123], a[150:151], v[50:51], v[120:123]// 000000005314: D3F30078 0DE26596
	s_addk_i32 s64, 0x100                                      // 00000000531C: B7400100
	s_cmp_lt_i32 s64, s63                                      // 000000005320: BF043F40
	s_cbranch_scc0 label_2E22                                  // 000000005324: BF8422D8
	s_waitcnt vmcnt(10)                                        // 000000005328: BF8C0F7A
	v_mfma_f32_16x16x32_fp8_fp8 v[4:7], a[24:25], a[0:1], 0    // 00000000532C: D3F30004 1A020118
	s_add_u32 s12, s86, s69                                    // 000000005334: 800C4556
	s_addc_u32 s13, s87, 0                                     // 000000005338: 820D8057
	v_mfma_f32_16x16x32_fp8_fp8 v[4:7], a[26:27], a[2:3], v[4:7]// 00000000533C: D3F30004 1C12051A
	s_add_u32 s16, s88, s70                                    // 000000005344: 80104658
	s_addc_u32 s17, s89, 0                                     // 000000005348: 82118059
	v_mfma_f32_16x16x32_fp8_fp8 v[4:7], a[28:29], a[4:5], v[4:7]// 00000000534C: D3F30004 1C12091C
	buffer_load_dwordx4 a[56:59], v232, s[12:15], 0 offen      // 000000005354: E05C1000 808338E8
	v_mfma_f32_16x16x32_fp8_fp8 v[4:7], a[30:31], a[6:7], v[4:7]// 00000000535C: D3F30004 1C120D1E
	s_add_u32 s20, s90, s71                                    // 000000005364: 8014475A
	s_addc_u32 s21, s91, 0                                     // 000000005368: 8215805B
	v_mfma_f32_16x16x32_fp8_fp8 v[8:11], a[32:33], a[0:1], 0   // 00000000536C: D3F30008 1A020120
	s_add_u32 s24, s92, s71                                    // 000000005374: 8018475C
	s_addc_u32 s25, s93, 0                                     // 000000005378: 8219805D
	v_mfma_f32_16x16x32_fp8_fp8 v[8:11], a[34:35], a[2:3], v[8:11]// 00000000537C: D3F30008 1C220522
	s_mul_i32 s69, s59, s50                                    // 000000005384: 9245323B
	s_mul_i32 s71, s59, s66                                    // 000000005388: 9247423B
	v_mfma_f32_16x16x32_fp8_fp8 v[8:11], a[36:37], a[4:5], v[8:11]// 00000000538C: D3F30008 1C220924
	buffer_load_dwordx4 a[60:63], v233, s[12:15], 0 offen      // 000000005394: E05C1000 80833CE9
	v_mfma_f32_16x16x32_fp8_fp8 v[8:11], a[38:39], a[6:7], v[8:11]// 00000000539C: D3F30008 1C220D26
	s_mul_i32 s54, s78, s51                                    // 0000000053A4: 9236334E
	s_add_u32 s69, s69, s54                                    // 0000000053A8: 80453645
	v_mfma_f32_16x16x32_fp8_fp8 v[12:15], a[40:41], a[0:1], 0  // 0000000053AC: D3F3000C 1A020128
	s_mov_b32 s70, s69                                         // 0000000053B4: BEC60045
	v_mfma_f32_16x16x32_fp8_fp8 v[12:15], a[42:43], a[2:3], v[12:15]// 0000000053B8: D3F3000C 1C32052A
	s_mul_i32 s54, s78, 4                                      // 0000000053C0: 9236844E
	s_add_u32 s71, s71, s54                                    // 0000000053C4: 80473647
	v_mfma_f32_16x16x32_fp8_fp8 v[12:15], a[44:45], a[4:5], v[12:15]// 0000000053C8: D3F3000C 1C32092C
	buffer_load_dwordx4 a[64:67], v232, s[12:15], 0 offen offset:1024// 0000000053D0: E05C1400 808340E8
	v_mfma_f32_16x16x32_fp8_fp8 v[12:15], a[46:47], a[6:7], v[12:15]// 0000000053D8: D3F3000C 1C320D2E
	v_mfma_f32_16x16x32_fp8_fp8 v[16:19], a[48:49], a[0:1], 0  // 0000000053E0: D3F30010 1A020130
	v_mfma_f32_16x16x32_fp8_fp8 v[16:19], a[50:51], a[2:3], v[16:19]// 0000000053E8: D3F30010 1C420532
	v_mfma_f32_16x16x32_fp8_fp8 v[16:19], a[52:53], a[4:5], v[16:19]// 0000000053F0: D3F30010 1C420934
	buffer_load_dwordx4 a[68:71], v233, s[12:15], 0 offen offset:1024// 0000000053F8: E05C1400 808344E9
	v_mfma_f32_16x16x32_fp8_fp8 v[16:19], a[54:55], a[6:7], v[16:19]// 000000005400: D3F30010 1C420D36
	v_mfma_f32_16x16x32_fp8_fp8 v[20:23], a[24:25], a[8:9], 0  // 000000005408: D3F30014 1A021118
	v_mfma_f32_16x16x32_fp8_fp8 v[20:23], a[26:27], a[10:11], v[20:23]// 000000005410: D3F30014 1C52151A
	v_mfma_f32_16x16x32_fp8_fp8 v[20:23], a[28:29], a[12:13], v[20:23]// 000000005418: D3F30014 1C52191C
	buffer_load_dwordx4 a[72:75], v232, s[12:15], 0 offen offset:2048// 000000005420: E05C1800 808348E8
	v_mfma_f32_16x16x32_fp8_fp8 v[20:23], a[30:31], a[14:15], v[20:23]// 000000005428: D3F30014 1C521D1E
	v_mfma_f32_16x16x32_fp8_fp8 v[24:27], a[32:33], a[8:9], 0  // 000000005430: D3F30018 1A021120
	v_mfma_f32_16x16x32_fp8_fp8 v[24:27], a[34:35], a[10:11], v[24:27]// 000000005438: D3F30018 1C621522
	v_mfma_f32_16x16x32_fp8_fp8 v[24:27], a[36:37], a[12:13], v[24:27]// 000000005440: D3F30018 1C621924
	buffer_load_dwordx4 a[76:79], v233, s[12:15], 0 offen offset:2048// 000000005448: E05C1800 80834CE9
	v_mfma_f32_16x16x32_fp8_fp8 v[24:27], a[38:39], a[14:15], v[24:27]// 000000005450: D3F30018 1C621D26
	v_mfma_f32_16x16x32_fp8_fp8 v[28:31], a[40:41], a[8:9], 0  // 000000005458: D3F3001C 1A021128
	v_mfma_f32_16x16x32_fp8_fp8 v[28:31], a[42:43], a[10:11], v[28:31]// 000000005460: D3F3001C 1C72152A
	v_mfma_f32_16x16x32_fp8_fp8 v[28:31], a[44:45], a[12:13], v[28:31]// 000000005468: D3F3001C 1C72192C
	buffer_load_dwordx4 a[80:83], v232, s[12:15], 0 offen offset:3072// 000000005470: E05C1C00 808350E8
	v_mfma_f32_16x16x32_fp8_fp8 v[28:31], a[46:47], a[14:15], v[28:31]// 000000005478: D3F3001C 1C721D2E
	v_mfma_f32_16x16x32_fp8_fp8 v[32:35], a[48:49], a[8:9], 0  // 000000005480: D3F30020 1A021130
	v_mfma_f32_16x16x32_fp8_fp8 v[32:35], a[50:51], a[10:11], v[32:35]// 000000005488: D3F30020 1C821532
	v_mfma_f32_16x16x32_fp8_fp8 v[32:35], a[52:53], a[12:13], v[32:35]// 000000005490: D3F30020 1C821934
	buffer_load_dwordx4 a[84:87], v233, s[12:15], 0 offen offset:3072// 000000005498: E05C1C00 808354E9
	v_mfma_f32_16x16x32_fp8_fp8 v[32:35], a[54:55], a[14:15], v[32:35]// 0000000054A0: D3F30020 1C821D36
	v_mfma_f32_16x16x32_fp8_fp8 v[36:39], a[24:25], a[16:17], 0// 0000000054A8: D3F30024 1A022118
	v_mfma_f32_16x16x32_fp8_fp8 v[36:39], a[26:27], a[18:19], v[36:39]// 0000000054B0: D3F30024 1C92251A
	v_mfma_f32_16x16x32_fp8_fp8 v[36:39], a[28:29], a[20:21], v[36:39]// 0000000054B8: D3F30024 1C92291C
	v_mfma_f32_16x16x32_fp8_fp8 v[36:39], a[30:31], a[22:23], v[36:39]// 0000000054C0: D3F30024 1C922D1E
	v_mfma_f32_16x16x32_fp8_fp8 v[40:43], a[32:33], a[16:17], 0// 0000000054C8: D3F30028 1A022120
	v_mfma_f32_16x16x32_fp8_fp8 v[40:43], a[34:35], a[18:19], v[40:43]// 0000000054D0: D3F30028 1CA22522
	v_mfma_f32_16x16x32_fp8_fp8 v[40:43], a[36:37], a[20:21], v[40:43]// 0000000054D8: D3F30028 1CA22924
	v_mfma_f32_16x16x32_fp8_fp8 v[40:43], a[38:39], a[22:23], v[40:43]// 0000000054E0: D3F30028 1CA22D26
	v_mfma_f32_16x16x32_fp8_fp8 v[44:47], a[40:41], a[16:17], 0// 0000000054E8: D3F3002C 1A022128
	v_mfma_f32_16x16x32_fp8_fp8 v[44:47], a[42:43], a[18:19], v[44:47]// 0000000054F0: D3F3002C 1CB2252A
	v_mfma_f32_16x16x32_fp8_fp8 v[44:47], a[44:45], a[20:21], v[44:47]// 0000000054F8: D3F3002C 1CB2292C
	v_mfma_f32_16x16x32_fp8_fp8 v[44:47], a[46:47], a[22:23], v[44:47]// 000000005500: D3F3002C 1CB22D2E
	v_mfma_f32_16x16x32_fp8_fp8 v[48:51], a[48:49], a[16:17], 0// 000000005508: D3F30030 1A022130
	v_mfma_f32_16x16x32_fp8_fp8 v[48:51], a[50:51], a[18:19], v[48:51]// 000000005510: D3F30030 1CC22532
	v_mfma_f32_16x16x32_fp8_fp8 v[48:51], a[52:53], a[20:21], v[48:51]// 000000005518: D3F30030 1CC22934
	v_mfma_f32_16x16x32_fp8_fp8 v[48:51], a[54:55], a[22:23], v[48:51]// 000000005520: D3F30030 1CC22D36
	s_waitcnt vmcnt(16)                                        // 000000005528: BF8C4F70
	v_or_b32_dpp v36, v44, v36 row_shr:8 row_mask:0xf bank_mask:0xf bound_ctrl:1// 00000000552C: 284848FA FF09182C
	v_or_b32_dpp v37, v45, v37 row_shr:8 row_mask:0xf bank_mask:0xf bound_ctrl:1// 000000005534: 284A4AFA FF09182D
	v_or_b32_dpp v38, v46, v38 row_shr:8 row_mask:0xf bank_mask:0xf bound_ctrl:1// 00000000553C: 284C4CFA FF09182E
	v_or_b32_dpp v39, v47, v39 row_shr:8 row_mask:0xf bank_mask:0xf bound_ctrl:1// 000000005544: 284E4EFA FF09182F
	v_or_b32_dpp v40, v48, v40 row_shr:8 row_mask:0xf bank_mask:0xf bound_ctrl:1// 00000000554C: 285050FA FF091830
	v_or_b32_dpp v41, v49, v41 row_shr:8 row_mask:0xf bank_mask:0xf bound_ctrl:1// 000000005554: 285252FA FF091831
	v_or_b32_dpp v42, v50, v42 row_shr:8 row_mask:0xf bank_mask:0xf bound_ctrl:1// 00000000555C: 285454FA FF091832
	v_or_b32_dpp v43, v51, v43 row_shr:8 row_mask:0xf bank_mask:0xf bound_ctrl:1// 000000005564: 285656FA FF091833
	v_pk_mul_f32 v[4:5], v[148:149], v[4:5]                    // 00000000556C: D3B14004 18020994
	v_pk_mul_f32 v[6:7], v[148:149], v[6:7]                    // 000000005574: D3B14006 18020D94
	v_pk_mul_f32 v[8:9], v[148:149], v[8:9]                    // 00000000557C: D3B14008 18021194
	v_pk_mul_f32 v[10:11], v[148:149], v[10:11]                // 000000005584: D3B1400A 18021594
	v_pk_mul_f32 v[12:13], v[148:149], v[12:13]                // 00000000558C: D3B1400C 18021994
	v_pk_mul_f32 v[14:15], v[148:149], v[14:15]                // 000000005594: D3B1400E 18021D94
	v_pk_mul_f32 v[16:17], v[148:149], v[16:17]                // 00000000559C: D3B14010 18022194
	v_pk_mul_f32 v[18:19], v[148:149], v[18:19]                // 0000000055A4: D3B14012 18022594
	v_mul_f32_e32 v4, v154, v4                                 // 0000000055AC: 0A08099A
	v_mul_f32_e32 v5, v154, v5                                 // 0000000055B0: 0A0A0B9A
	v_mul_f32_e32 v6, v154, v6                                 // 0000000055B4: 0A0C0D9A
	v_mul_f32_e32 v7, v154, v7                                 // 0000000055B8: 0A0E0F9A
	v_mul_f32_e32 v8, v154, v8                                 // 0000000055BC: 0A10119A
	v_mul_f32_e32 v9, v154, v9                                 // 0000000055C0: 0A12139A
	v_mul_f32_e32 v10, v154, v10                               // 0000000055C4: 0A14159A
	v_mul_f32_e32 v11, v154, v11                               // 0000000055C8: 0A16179A
	v_mul_f32_e32 v12, v154, v12                               // 0000000055CC: 0A18199A
	v_mul_f32_e32 v13, v154, v13                               // 0000000055D0: 0A1A1B9A
	v_mul_f32_e32 v14, v154, v14                               // 0000000055D4: 0A1C1D9A
	v_mul_f32_e32 v15, v154, v15                               // 0000000055D8: 0A1E1F9A
	v_mul_f32_e32 v16, v154, v16                               // 0000000055DC: 0A20219A
	v_mul_f32_e32 v17, v154, v17                               // 0000000055E0: 0A22239A
	v_mul_f32_e32 v18, v154, v18                               // 0000000055E4: 0A24259A
	v_mul_f32_e32 v19, v154, v19                               // 0000000055E8: 0A26279A
	v_pk_mul_f32 v[20:21], v[150:151], v[20:21]                // 0000000055EC: D3B14014 18022996
	v_pk_mul_f32 v[22:23], v[150:151], v[22:23]                // 0000000055F4: D3B14016 18022D96
	v_pk_mul_f32 v[24:25], v[150:151], v[24:25]                // 0000000055FC: D3B14018 18023196
	v_pk_mul_f32 v[26:27], v[150:151], v[26:27]                // 000000005604: D3B1401A 18023596
	v_pk_mul_f32 v[28:29], v[150:151], v[28:29]                // 00000000560C: D3B1401C 18023996
	v_pk_mul_f32 v[30:31], v[150:151], v[30:31]                // 000000005614: D3B1401E 18023D96
	v_pk_mul_f32 v[32:33], v[150:151], v[32:33]                // 00000000561C: D3B14020 18024196
	v_pk_mul_f32 v[34:35], v[150:151], v[34:35]                // 000000005624: D3B14022 18024596
	v_mul_f32_e32 v20, v154, v20                               // 00000000562C: 0A28299A
	v_mul_f32_e32 v21, v154, v21                               // 000000005630: 0A2A2B9A
	v_mul_f32_e32 v22, v154, v22                               // 000000005634: 0A2C2D9A
	v_mul_f32_e32 v23, v154, v23                               // 000000005638: 0A2E2F9A
	v_mul_f32_e32 v24, v154, v24                               // 00000000563C: 0A30319A
	v_mul_f32_e32 v25, v154, v25                               // 000000005640: 0A32339A
	v_mul_f32_e32 v26, v154, v26                               // 000000005644: 0A34359A
	v_mul_f32_e32 v27, v154, v27                               // 000000005648: 0A36379A
	v_mul_f32_e32 v28, v154, v28                               // 00000000564C: 0A38399A
	v_mul_f32_e32 v29, v154, v29                               // 000000005650: 0A3A3B9A
	v_mul_f32_e32 v30, v154, v30                               // 000000005654: 0A3C3D9A
	v_mul_f32_e32 v31, v154, v31                               // 000000005658: 0A3E3F9A
	v_mul_f32_e32 v32, v154, v32                               // 00000000565C: 0A40419A
	v_mul_f32_e32 v33, v154, v33                               // 000000005660: 0A42439A
	v_mul_f32_e32 v34, v154, v34                               // 000000005664: 0A44459A
	v_mul_f32_e32 v35, v154, v35                               // 000000005668: 0A46479A
	v_pk_mul_f32 v[36:37], v[152:153], v[36:37]                // 00000000566C: D3B14024 18024998
	v_pk_mul_f32 v[38:39], v[152:153], v[38:39]                // 000000005674: D3B14026 18024D98
	v_pk_mul_f32 v[40:41], v[152:153], v[40:41]                // 00000000567C: D3B14028 18025198
	v_pk_mul_f32 v[42:43], v[152:153], v[42:43]                // 000000005684: D3B1402A 18025598
	v_mul_f32_e32 v36, v154, v36                               // 00000000568C: 0A48499A
	v_mul_f32_e32 v37, v154, v37                               // 000000005690: 0A4A4B9A
	v_mul_f32_e32 v38, v154, v38                               // 000000005694: 0A4C4D9A
	v_mul_f32_e32 v39, v154, v39                               // 000000005698: 0A4E4F9A
	v_mul_f32_e32 v40, v154, v40                               // 00000000569C: 0A50519A
	v_mul_f32_e32 v41, v154, v41                               // 0000000056A0: 0A52539A
	v_mul_f32_e32 v42, v154, v42                               // 0000000056A4: 0A54559A
	v_mul_f32_e32 v43, v154, v43                               // 0000000056A8: 0A56579A
	v_mov_b32_e32 v190, v36                                    // 0000000056AC: 7F7C0324
	v_max3_f32 v190, v36, v37, v190                            // 0000000056B0: D1D300BE 06FA4B24
	v_max3_f32 v190, v38, v39, v190                            // 0000000056B8: D1D300BE 06FA4F26
	v_max3_f32 v190, v40, v41, v190                            // 0000000056C0: D1D300BE 06FA5328
	v_max3_f32 v190, v42, v43, v190                            // 0000000056C8: D1D300BE 06FA572A
	v_mov_b32_e32 v189, v20                                    // 0000000056D0: 7F7A0314
	v_max3_f32 v189, v20, v21, v189                            // 0000000056D4: D1D300BD 06F62B14
	v_max3_f32 v189, v22, v23, v189                            // 0000000056DC: D1D300BD 06F62F16
	v_max3_f32 v189, v24, v25, v189                            // 0000000056E4: D1D300BD 06F63318
	v_max3_f32 v189, v26, v27, v189                            // 0000000056EC: D1D300BD 06F6371A
	v_max3_f32 v189, v28, v29, v189                            // 0000000056F4: D1D300BD 06F63B1C
	v_max3_f32 v189, v30, v31, v189                            // 0000000056FC: D1D300BD 06F63F1E
	v_max3_f32 v189, v32, v33, v189                            // 000000005704: D1D300BD 06F64320
	v_max3_f32 v189, v34, v35, v189                            // 00000000570C: D1D300BD 06F64722
	v_mov_b32_e32 v188, v4                                     // 000000005714: 7F780304
	v_max3_f32 v188, v4, v5, v188                              // 000000005718: D1D300BC 06F20B04
	v_max3_f32 v188, v6, v7, v188                              // 000000005720: D1D300BC 06F20F06
	v_max3_f32 v188, v8, v9, v188                              // 000000005728: D1D300BC 06F21308
	v_max3_f32 v188, v10, v11, v188                            // 000000005730: D1D300BC 06F2170A
	v_max3_f32 v188, v12, v13, v188                            // 000000005738: D1D300BC 06F21B0C
	v_max3_f32 v188, v14, v15, v188                            // 000000005740: D1D300BC 06F21F0E
	v_max3_f32 v188, v16, v17, v188                            // 000000005748: D1D300BC 06F22310
	v_max3_f32 v188, v18, v19, v188                            // 000000005750: D1D300BC 06F22712
	v_max_f32_dpp v190, v190, v190 row_ror:8 row_mask:0xf bank_mask:0xf// 000000005758: 177D7CFA FF0128BE
	ds_bpermute_b32 v172, v212, v188                           // 000000005760: D87E0000 AC00BCD4
	ds_bpermute_b32 v173, v213, v188                           // 000000005768: D87E0000 AD00BCD5
	ds_bpermute_b32 v174, v214, v188                           // 000000005770: D87E0000 AE00BCD6
	ds_bpermute_b32 v175, v212, v189                           // 000000005778: D87E0000 AF00BDD4
	ds_bpermute_b32 v176, v213, v189                           // 000000005780: D87E0000 B000BDD5
	ds_bpermute_b32 v177, v214, v189                           // 000000005788: D87E0000 B100BDD6
	ds_bpermute_b32 v178, v212, v190                           // 000000005790: D87E0000 B200BED4
	ds_bpermute_b32 v179, v213, v190                           // 000000005798: D87E0000 B300BED5
	ds_bpermute_b32 v180, v214, v190                           // 0000000057A0: D87E0000 B400BED6
	v_pk_mul_f32 v[124:125], v[200:201], v[124:125]            // 0000000057A8: D3B1407C 1802F9C8
	v_pk_mul_f32 v[126:127], v[200:201], v[126:127]            // 0000000057B0: D3B1407E 1802FDC8
	v_pk_mul_f32 v[128:129], v[200:201], v[128:129]            // 0000000057B8: D3B14080 180301C8
	v_pk_mul_f32 v[130:131], v[200:201], v[130:131]            // 0000000057C0: D3B14082 180305C8
	v_pk_mul_f32 v[132:133], v[202:203], v[132:133]            // 0000000057C8: D3B14084 180309CA
	v_pk_mul_f32 v[134:135], v[202:203], v[134:135]            // 0000000057D0: D3B14086 18030DCA
	v_pk_mul_f32 v[136:137], v[202:203], v[136:137]            // 0000000057D8: D3B14088 180311CA
	v_pk_mul_f32 v[138:139], v[202:203], v[138:139]            // 0000000057E0: D3B1408A 180315CA
	v_pk_mul_f32 v[140:141], v[204:205], v[140:141]            // 0000000057E8: D3B1408C 180319CC
	v_pk_mul_f32 v[142:143], v[204:205], v[142:143]            // 0000000057F0: D3B1408E 18031DCC
	v_pk_mul_f32 v[144:145], v[204:205], v[144:145]            // 0000000057F8: D3B14090 180321CC
	v_pk_mul_f32 v[146:147], v[204:205], v[146:147]            // 000000005800: D3B14092 180325CC
	s_waitcnt lgkmcnt(6)                                       // 000000005808: BF8CC67F
	v_max3_f32 v188, v172, v173, v188                          // 00000000580C: D1D300BC 06F35BAC
	v_max_f32_e32 v188, v174, v188                             // 000000005814: 177979AE
	s_waitcnt lgkmcnt(3)                                       // 000000005818: BF8CC37F
	v_max3_f32 v189, v175, v176, v189                          // 00000000581C: D1D300BD 06F761AF
	v_max_f32_e32 v189, v177, v189                             // 000000005824: 177B7BB1
	s_waitcnt lgkmcnt(0)                                       // 000000005828: BF8CC07F
	v_max3_f32 v190, v178, v179, v190                          // 00000000582C: D1D300BE 06FB67B2
	v_max_f32_e32 v190, v180, v190                             // 000000005834: 177D7DB4
	ds_write_b128 v252, v[188:191]                             // 000000005838: D9BE0000 0000BCFC
	s_waitcnt lgkmcnt(0)                                       // 000000005840: BF8CC07F
	s_barrier                                                  // 000000005844: BF8A0000
	ds_read_b128 v[172:175], v253                              // 000000005848: D9FE0000 AC0000FD
	ds_read_b128 v[176:179], v253 offset:256                   // 000000005850: D9FE0100 B00000FD
	ds_read_b128 v[180:183], v253 offset:512                   // 000000005858: D9FE0200 B40000FD
	ds_read_b128 v[184:187], v253 offset:768                   // 000000005860: D9FE0300 B80000FD
	v_pk_mul_f32 v[100:101], v[158:159], v[100:101]            // 000000005868: D3B14064 1802C99E
	v_pk_mul_f32 v[102:103], v[158:159], v[102:103]            // 000000005870: D3B14066 1802CD9E
	v_pk_mul_f32 v[104:105], v[158:159], v[104:105]            // 000000005878: D3B14068 1802D19E
	v_pk_mul_f32 v[106:107], v[158:159], v[106:107]            // 000000005880: D3B1406A 1802D59E
	v_pk_mul_f32 v[108:109], v[160:161], v[108:109]            // 000000005888: D3B1406C 1802D9A0
	v_pk_mul_f32 v[110:111], v[160:161], v[110:111]            // 000000005890: D3B1406E 1802DDA0
	v_pk_mul_f32 v[112:113], v[160:161], v[112:113]            // 000000005898: D3B14070 1802E1A0
	v_pk_mul_f32 v[114:115], v[160:161], v[114:115]            // 0000000058A0: D3B14072 1802E5A0
	v_pk_mul_f32 v[116:117], v[162:163], v[116:117]            // 0000000058A8: D3B14074 1802E9A2
	v_pk_mul_f32 v[118:119], v[162:163], v[118:119]            // 0000000058B0: D3B14076 1802EDA2
	v_pk_mul_f32 v[120:121], v[162:163], v[120:121]            // 0000000058B8: D3B14078 1802F1A2
	v_pk_mul_f32 v[122:123], v[162:163], v[122:123]            // 0000000058C0: D3B1407A 1802F5A2
	s_waitcnt lgkmcnt(0)                                       // 0000000058C8: BF8CC07F
	v_max3_f32 v188, v172, v176, v188                          // 0000000058CC: D1D300BC 06F361AC
	v_max3_f32 v189, v173, v177, v189                          // 0000000058D4: D1D300BD 06F763AD
	v_max3_f32 v190, v174, v178, v190                          // 0000000058DC: D1D300BE 06FB65AE
	v_max3_f32 v188, v180, v184, v188                          // 0000000058E4: D1D300BC 06F371B4
	v_max3_f32 v189, v181, v185, v189                          // 0000000058EC: D1D300BD 06F773B5
	v_max3_f32 v190, v182, v186, v190                          // 0000000058F4: D1D300BE 06FB75B6
	v_max_f32_e32 v197, v188, v194                             // 0000000058FC: 178B85BC
	v_mul_f32_e64 v168, -s46, v197                             // 000000005900: D10500A8 20038A2E
	v_mov_b32_e32 v169, v168                                   // 000000005908: 7F5203A8
	v_pk_fma_f32 v[4:5], v[4:5], s[46:47], v[168:169]          // 00000000590C: D3B04004 1EA05D04
	v_pk_fma_f32 v[6:7], v[6:7], s[46:47], v[168:169]          // 000000005914: D3B04006 1EA05D06
	v_exp_f32_e32 v4, v4                                       // 00000000591C: 7E084104
	v_exp_f32_e32 v5, v5                                       // 000000005920: 7E0A4105
	v_exp_f32_e32 v6, v6                                       // 000000005924: 7E0C4106
	v_exp_f32_e32 v7, v7                                       // 000000005928: 7E0E4107
	v_pk_fma_f32 v[8:9], v[8:9], s[46:47], v[168:169]          // 00000000592C: D3B04008 1EA05D08
	v_pk_fma_f32 v[10:11], v[10:11], s[46:47], v[168:169]      // 000000005934: D3B0400A 1EA05D0A
	v_exp_f32_e32 v8, v8                                       // 00000000593C: 7E104108
	v_exp_f32_e32 v9, v9                                       // 000000005940: 7E124109
	v_exp_f32_e32 v10, v10                                     // 000000005944: 7E14410A
	v_exp_f32_e32 v11, v11                                     // 000000005948: 7E16410B
	v_pk_fma_f32 v[12:13], v[12:13], s[46:47], v[168:169]      // 00000000594C: D3B0400C 1EA05D0C
	v_pk_fma_f32 v[14:15], v[14:15], s[46:47], v[168:169]      // 000000005954: D3B0400E 1EA05D0E
	v_exp_f32_e32 v12, v12                                     // 00000000595C: 7E18410C
	v_exp_f32_e32 v13, v13                                     // 000000005960: 7E1A410D
	v_exp_f32_e32 v14, v14                                     // 000000005964: 7E1C410E
	v_exp_f32_e32 v15, v15                                     // 000000005968: 7E1E410F
	v_pk_fma_f32 v[16:17], v[16:17], s[46:47], v[168:169]      // 00000000596C: D3B04010 1EA05D10
	v_pk_fma_f32 v[18:19], v[18:19], s[46:47], v[168:169]      // 000000005974: D3B04012 1EA05D12
	v_exp_f32_e32 v16, v16                                     // 00000000597C: 7E204110
	v_exp_f32_e32 v17, v17                                     // 000000005980: 7E224111
	v_exp_f32_e32 v18, v18                                     // 000000005984: 7E244112
	v_exp_f32_e32 v19, v19                                     // 000000005988: 7E264113
	v_max_f32_e32 v198, v189, v195                             // 00000000598C: 178D87BD
	v_mul_f32_e64 v168, -s46, v198                             // 000000005990: D10500A8 20038C2E
	v_mov_b32_e32 v169, v168                                   // 000000005998: 7F5203A8
	v_pk_fma_f32 v[20:21], v[20:21], s[46:47], v[168:169]      // 00000000599C: D3B04014 1EA05D14
	v_pk_fma_f32 v[22:23], v[22:23], s[46:47], v[168:169]      // 0000000059A4: D3B04016 1EA05D16
	v_exp_f32_e32 v20, v20                                     // 0000000059AC: 7E284114
	v_exp_f32_e32 v21, v21                                     // 0000000059B0: 7E2A4115
	v_exp_f32_e32 v22, v22                                     // 0000000059B4: 7E2C4116
	v_exp_f32_e32 v23, v23                                     // 0000000059B8: 7E2E4117
	v_pk_fma_f32 v[24:25], v[24:25], s[46:47], v[168:169]      // 0000000059BC: D3B04018 1EA05D18
	v_pk_fma_f32 v[26:27], v[26:27], s[46:47], v[168:169]      // 0000000059C4: D3B0401A 1EA05D1A
	v_exp_f32_e32 v24, v24                                     // 0000000059CC: 7E304118
	v_exp_f32_e32 v25, v25                                     // 0000000059D0: 7E324119
	v_exp_f32_e32 v26, v26                                     // 0000000059D4: 7E34411A
	v_exp_f32_e32 v27, v27                                     // 0000000059D8: 7E36411B
	v_pk_fma_f32 v[28:29], v[28:29], s[46:47], v[168:169]      // 0000000059DC: D3B0401C 1EA05D1C
	v_pk_fma_f32 v[30:31], v[30:31], s[46:47], v[168:169]      // 0000000059E4: D3B0401E 1EA05D1E
	v_exp_f32_e32 v28, v28                                     // 0000000059EC: 7E38411C
	v_exp_f32_e32 v29, v29                                     // 0000000059F0: 7E3A411D
	v_exp_f32_e32 v30, v30                                     // 0000000059F4: 7E3C411E
	v_exp_f32_e32 v31, v31                                     // 0000000059F8: 7E3E411F
	v_pk_fma_f32 v[32:33], v[32:33], s[46:47], v[168:169]      // 0000000059FC: D3B04020 1EA05D20
	v_pk_fma_f32 v[34:35], v[34:35], s[46:47], v[168:169]      // 000000005A04: D3B04022 1EA05D22
	v_exp_f32_e32 v32, v32                                     // 000000005A0C: 7E404120
	v_exp_f32_e32 v33, v33                                     // 000000005A10: 7E424121
	v_exp_f32_e32 v34, v34                                     // 000000005A14: 7E444122
	v_exp_f32_e32 v35, v35                                     // 000000005A18: 7E464123
	v_max_f32_e32 v199, v190, v196                             // 000000005A1C: 178F89BE
	v_mul_f32_e64 v168, -s46, v199                             // 000000005A20: D10500A8 20038E2E
	v_mov_b32_e32 v169, v168                                   // 000000005A28: 7F5203A8
	v_pk_fma_f32 v[36:37], v[36:37], s[46:47], v[168:169]      // 000000005A2C: D3B04024 1EA05D24
	v_pk_fma_f32 v[38:39], v[38:39], s[46:47], v[168:169]      // 000000005A34: D3B04026 1EA05D26
	v_exp_f32_e32 v36, v36                                     // 000000005A3C: 7E484124
	v_exp_f32_e32 v37, v37                                     // 000000005A40: 7E4A4125
	v_exp_f32_e32 v38, v38                                     // 000000005A44: 7E4C4126
	v_exp_f32_e32 v39, v39                                     // 000000005A48: 7E4E4127
	v_pk_fma_f32 v[40:41], v[40:41], s[46:47], v[168:169]      // 000000005A4C: D3B04028 1EA05D28
	v_pk_fma_f32 v[42:43], v[42:43], s[46:47], v[168:169]      // 000000005A54: D3B0402A 1EA05D2A
	v_exp_f32_e32 v40, v40                                     // 000000005A5C: 7E504128
	v_exp_f32_e32 v41, v41                                     // 000000005A60: 7E524129
	v_exp_f32_e32 v42, v42                                     // 000000005A64: 7E54412A
	v_exp_f32_e32 v43, v43                                     // 000000005A68: 7E56412B
	v_mul_f32_e32 v52, v156, v4                                // 000000005A6C: 0A68099C
	v_mul_f32_e32 v53, v156, v5                                // 000000005A70: 0A6A0B9C
	v_mul_f32_e32 v54, v156, v6                                // 000000005A74: 0A6C0D9C
	v_mul_f32_e32 v55, v156, v7                                // 000000005A78: 0A6E0F9C
	v_mul_f32_e32 v56, v156, v8                                // 000000005A7C: 0A70119C
	v_mul_f32_e32 v57, v156, v9                                // 000000005A80: 0A72139C
	v_mul_f32_e32 v58, v156, v10                               // 000000005A84: 0A74159C
	v_mul_f32_e32 v59, v156, v11                               // 000000005A88: 0A76179C
	v_mul_f32_e32 v60, v156, v12                               // 000000005A8C: 0A78199C
	v_mul_f32_e32 v61, v156, v13                               // 000000005A90: 0A7A1B9C
	v_mul_f32_e32 v62, v156, v14                               // 000000005A94: 0A7C1D9C
	v_mul_f32_e32 v63, v156, v15                               // 000000005A98: 0A7E1F9C
	v_mul_f32_e32 v64, v156, v16                               // 000000005A9C: 0A80219C
	v_mul_f32_e32 v65, v156, v17                               // 000000005AA0: 0A82239C
	v_mul_f32_e32 v66, v156, v18                               // 000000005AA4: 0A84259C
	v_mul_f32_e32 v67, v156, v19                               // 000000005AA8: 0A86279C
	v_mul_f32_e32 v68, v156, v20                               // 000000005AAC: 0A88299C
	v_mul_f32_e32 v69, v156, v21                               // 000000005AB0: 0A8A2B9C
	v_mul_f32_e32 v70, v156, v22                               // 000000005AB4: 0A8C2D9C
	v_mul_f32_e32 v71, v156, v23                               // 000000005AB8: 0A8E2F9C
	v_mul_f32_e32 v72, v156, v24                               // 000000005ABC: 0A90319C
	v_mul_f32_e32 v73, v156, v25                               // 000000005AC0: 0A92339C
	v_mul_f32_e32 v74, v156, v26                               // 000000005AC4: 0A94359C
	v_mul_f32_e32 v75, v156, v27                               // 000000005AC8: 0A96379C
	v_mul_f32_e32 v76, v156, v28                               // 000000005ACC: 0A98399C
	v_mul_f32_e32 v77, v156, v29                               // 000000005AD0: 0A9A3B9C
	v_mul_f32_e32 v78, v156, v30                               // 000000005AD4: 0A9C3D9C
	v_mul_f32_e32 v79, v156, v31                               // 000000005AD8: 0A9E3F9C
	v_mul_f32_e32 v80, v156, v32                               // 000000005ADC: 0AA0419C
	v_mul_f32_e32 v81, v156, v33                               // 000000005AE0: 0AA2439C
	v_mul_f32_e32 v82, v156, v34                               // 000000005AE4: 0AA4459C
	v_mul_f32_e32 v83, v156, v35                               // 000000005AE8: 0AA6479C
	v_mul_f32_e32 v84, v156, v36                               // 000000005AEC: 0AA8499C
	v_mul_f32_e32 v85, v156, v37                               // 000000005AF0: 0AAA4B9C
	v_mul_f32_e32 v86, v156, v38                               // 000000005AF4: 0AAC4D9C
	v_mul_f32_e32 v87, v156, v39                               // 000000005AF8: 0AAE4F9C
	v_mul_f32_e32 v88, v156, v40                               // 000000005AFC: 0AB0519C
	v_mul_f32_e32 v89, v156, v41                               // 000000005B00: 0AB2539C
	v_mul_f32_e32 v90, v156, v42                               // 000000005B04: 0AB4559C
	v_mul_f32_e32 v91, v156, v43                               // 000000005B08: 0AB6579C
	buffer_load_dword v155, v238, s[20:23], 0 offen            // 000000005B0C: E0501000 80059BEE
	v_sub_f32_e32 v200, v194, v197                             // 000000005B14: 05918BC2
	v_cmp_eq_u32_e64 s[98:99], v225, v194                      // 000000005B18: D0CA0062 000385E1
	v_cndmask_b32_e64 v200, v200, 0, s[98:99]                  // 000000005B20: D10000C8 018901C8
	v_mov_b32_e32 v194, v197                                   // 000000005B28: 7F8403C5
	v_mul_f32_e32 v200, s46, v200                              // 000000005B2C: 0B91902E
	v_exp_f32_e32 v200, v200                                   // 000000005B30: 7F9041C8
	v_sub_f32_e32 v202, v195, v198                             // 000000005B34: 05958DC3
	v_cmp_eq_u32_e64 s[98:99], v225, v195                      // 000000005B38: D0CA0062 000387E1
	v_cndmask_b32_e64 v202, v202, 0, s[98:99]                  // 000000005B40: D10000CA 018901CA
	v_mov_b32_e32 v195, v198                                   // 000000005B48: 7F8603C6
	v_mul_f32_e32 v202, s46, v202                              // 000000005B4C: 0B95942E
	v_exp_f32_e32 v202, v202                                   // 000000005B50: 7F9441CA
	v_sub_f32_e32 v204, v196, v199                             // 000000005B54: 05998FC4
	v_cmp_eq_u32_e64 s[98:99], v225, v196                      // 000000005B58: D0CA0062 000389E1
	v_cndmask_b32_e64 v204, v204, 0, s[98:99]                  // 000000005B60: D10000CC 018901CC
	v_mov_b32_e32 v196, v199                                   // 000000005B68: 7F8803C7
	v_mul_f32_e32 v204, s46, v204                              // 000000005B6C: 0B99982E
	v_exp_f32_e32 v204, v204                                   // 000000005B70: 7F9841CC
	v_mov_b32_e32 v201, v200                                   // 000000005B74: 7F9203C8
	v_mov_b32_e32 v203, v202                                   // 000000005B78: 7F9603CA
	v_mov_b32_e32 v205, v204                                   // 000000005B7C: 7F9A03CC
	s_waitcnt lgkmcnt(0)                                       // 000000005B80: BF8CC07F
	s_barrier                                                  // 000000005B84: BF8A0000
	buffer_load_dword v157, v239, s[24:27], 0 offen            // 000000005B88: E0501000 80069DEF
	v_mul_f32_e32 v206, v200, v206                             // 000000005B90: 0B9D9DC8
	v_mov_b32_e32 v207, 0                                      // 000000005B94: 7F9E0280
	v_pk_add_f32 v[206:207], v[4:5], v[206:207]                // 000000005B98: D3B240CE 18039D04
	v_pk_add_f32 v[206:207], v[6:7], v[206:207]                // 000000005BA0: D3B240CE 18039D06
	v_pk_add_f32 v[206:207], v[8:9], v[206:207]                // 000000005BA8: D3B240CE 18039D08
	v_pk_add_f32 v[206:207], v[10:11], v[206:207]              // 000000005BB0: D3B240CE 18039D0A
	v_pk_add_f32 v[206:207], v[12:13], v[206:207]              // 000000005BB8: D3B240CE 18039D0C
	v_pk_add_f32 v[206:207], v[14:15], v[206:207]              // 000000005BC0: D3B240CE 18039D0E
	v_pk_add_f32 v[206:207], v[16:17], v[206:207]              // 000000005BC8: D3B240CE 18039D10
	v_pk_add_f32 v[206:207], v[18:19], v[206:207]              // 000000005BD0: D3B240CE 18039D12
	v_add_f32_e32 v206, v207, v206                             // 000000005BD8: 039D9DCF
	v_mul_f32_e32 v208, v202, v208                             // 000000005BDC: 0BA1A1CA
	v_mov_b32_e32 v209, 0                                      // 000000005BE0: 7FA20280
	v_pk_add_f32 v[208:209], v[20:21], v[208:209]              // 000000005BE4: D3B240D0 1803A114
	v_pk_add_f32 v[208:209], v[22:23], v[208:209]              // 000000005BEC: D3B240D0 1803A116
	v_pk_add_f32 v[208:209], v[24:25], v[208:209]              // 000000005BF4: D3B240D0 1803A118
	v_pk_add_f32 v[208:209], v[26:27], v[208:209]              // 000000005BFC: D3B240D0 1803A11A
	v_pk_add_f32 v[208:209], v[28:29], v[208:209]              // 000000005C04: D3B240D0 1803A11C
	v_pk_add_f32 v[208:209], v[30:31], v[208:209]              // 000000005C0C: D3B240D0 1803A11E
	v_pk_add_f32 v[208:209], v[32:33], v[208:209]              // 000000005C14: D3B240D0 1803A120
	v_pk_add_f32 v[208:209], v[34:35], v[208:209]              // 000000005C1C: D3B240D0 1803A122
	v_add_f32_e32 v208, v209, v208                             // 000000005C24: 03A1A1D1
	v_mul_f32_e32 v210, v204, v210                             // 000000005C28: 0BA5A5CC
	v_mov_b32_e32 v211, 0                                      // 000000005C2C: 7FA60280
	v_pk_add_f32 v[210:211], v[36:37], v[210:211]              // 000000005C30: D3B240D2 1803A524
	v_pk_add_f32 v[210:211], v[38:39], v[210:211]              // 000000005C38: D3B240D2 1803A526
	v_pk_add_f32 v[210:211], v[40:41], v[210:211]              // 000000005C40: D3B240D2 1803A528
	v_pk_add_f32 v[210:211], v[42:43], v[210:211]              // 000000005C48: D3B240D2 1803A52A
	v_add_f32_e32 v210, v211, v210                             // 000000005C50: 03A5A5D3
	s_waitcnt lgkmcnt(0)                                       // 000000005C54: BF8CC07F
	v_sub_f32_e32 v188, v188, v194                             // 000000005C58: 057985BC
	v_sub_f32_e32 v189, v189, v195                             // 000000005C5C: 057B87BD
	v_sub_f32_e32 v190, v190, v196                             // 000000005C60: 057D89BE
	v_mul_f32_e32 v188, s46, v188                              // 000000005C64: 0B79782E
	v_mul_f32_e32 v189, s46, v189                              // 000000005C68: 0B7B7A2E
	v_mul_f32_e32 v190, s46, v190                              // 000000005C6C: 0B7D7C2E
	v_exp_f32_e32 v188, v188                                   // 000000005C70: 7F7841BC
	v_exp_f32_e32 v189, v189                                   // 000000005C74: 7F7A41BD
	v_exp_f32_e32 v190, v190                                   // 000000005C78: 7F7C41BE
	v_mul_f32_e32 v188, v156, v188                             // 000000005C7C: 0B79799C
	v_mul_f32_e32 v189, v156, v189                             // 000000005C80: 0B7B7B9C
	v_mul_f32_e32 v190, v156, v190                             // 000000005C84: 0B7D7D9C
	v_add_f32_e32 v188, 0x3089705f, v188                       // 000000005C88: 037978FF 3089705F
	v_add_f32_e32 v189, 0x3089705f, v189                       // 000000005C90: 037B7AFF 3089705F
	v_add_f32_e32 v190, 0x3089705f, v190                       // 000000005C98: 037D7CFF 3089705F
	v_rcp_f32_e32 v188, v188                                   // 000000005CA0: 7F7845BC
	v_rcp_f32_e32 v189, v189                                   // 000000005CA4: 7F7A45BD
	v_rcp_f32_e32 v190, v190                                   // 000000005CA8: 7F7C45BE
	v_mul_f32_e32 v188, 0x43700000, v188                       // 000000005CAC: 0B7978FF 43700000
	v_mul_f32_e32 v189, 0x43700000, v189                       // 000000005CB4: 0B7B7AFF 43700000
	v_mul_f32_e32 v190, 0x43700000, v190                       // 000000005CBC: 0B7D7CFF 43700000
	v_mov_b32_e32 v192, v190                                   // 000000005CC4: 7F8003BE
	v_mov_b32_e32 v193, v190                                   // 000000005CC8: 7F8203BE
	v_mov_b32_e32 v190, v189                                   // 000000005CCC: 7F7C03BD
	v_mov_b32_e32 v191, v189                                   // 000000005CD0: 7F7E03BD
	v_mov_b32_e32 v189, v188                                   // 000000005CD4: 7F7A03BC
	v_pk_mul_f32 v[4:5], v[188:189], v[52:53]                  // 000000005CD8: D3B14004 180269BC
	v_pk_mul_f32 v[6:7], v[188:189], v[54:55]                  // 000000005CE0: D3B14006 18026DBC
	v_pk_mul_f32 v[8:9], v[188:189], v[56:57]                  // 000000005CE8: D3B14008 180271BC
	v_pk_mul_f32 v[10:11], v[188:189], v[58:59]                // 000000005CF0: D3B1400A 180275BC
	v_pk_mul_f32 v[12:13], v[188:189], v[60:61]                // 000000005CF8: D3B1400C 180279BC
	v_pk_mul_f32 v[14:15], v[188:189], v[62:63]                // 000000005D00: D3B1400E 18027DBC
	v_pk_mul_f32 v[16:17], v[188:189], v[64:65]                // 000000005D08: D3B14010 180281BC
	v_pk_mul_f32 v[18:19], v[188:189], v[66:67]                // 000000005D10: D3B14012 180285BC
	v_pk_mul_f32 v[20:21], v[190:191], v[68:69]                // 000000005D18: D3B14014 180289BE
	v_pk_mul_f32 v[22:23], v[190:191], v[70:71]                // 000000005D20: D3B14016 18028DBE
	v_pk_mul_f32 v[24:25], v[190:191], v[72:73]                // 000000005D28: D3B14018 180291BE
	v_pk_mul_f32 v[26:27], v[190:191], v[74:75]                // 000000005D30: D3B1401A 180295BE
	v_pk_mul_f32 v[28:29], v[190:191], v[76:77]                // 000000005D38: D3B1401C 180299BE
	v_pk_mul_f32 v[30:31], v[190:191], v[78:79]                // 000000005D40: D3B1401E 18029DBE
	v_pk_mul_f32 v[32:33], v[190:191], v[80:81]                // 000000005D48: D3B14020 1802A1BE
	v_pk_mul_f32 v[34:35], v[190:191], v[82:83]                // 000000005D50: D3B14022 1802A5BE
	v_pk_mul_f32 v[36:37], v[192:193], v[84:85]                // 000000005D58: D3B14024 1802A9C0
	v_pk_mul_f32 v[38:39], v[192:193], v[86:87]                // 000000005D60: D3B14026 1802ADC0
	v_pk_mul_f32 v[40:41], v[192:193], v[88:89]                // 000000005D68: D3B14028 1802B1C0
	v_pk_mul_f32 v[42:43], v[192:193], v[90:91]                // 000000005D70: D3B1402A 1802B5C0
	v_cvt_pk_fp8_f32 v4, v4, v5                                // 000000005D78: D2A20004 00020B04
	v_cvt_pk_fp8_f32 v4, v6, v7 op_sel:[0,0,1]                 // 000000005D80: D2A24004 00020F06
	v_cvt_pk_fp8_f32 v5, v8, v9                                // 000000005D88: D2A20005 00021308
	v_cvt_pk_fp8_f32 v5, v10, v11 op_sel:[0,0,1]               // 000000005D90: D2A24005 0002170A
	v_cvt_pk_fp8_f32 v6, v12, v13                              // 000000005D98: D2A20006 00021B0C
	v_cvt_pk_fp8_f32 v6, v14, v15 op_sel:[0,0,1]               // 000000005DA0: D2A24006 00021F0E
	v_cvt_pk_fp8_f32 v7, v16, v17                              // 000000005DA8: D2A20007 00022310
	v_cvt_pk_fp8_f32 v7, v18, v19 op_sel:[0,0,1]               // 000000005DB0: D2A24007 00022712
	v_cvt_pk_fp8_f32 v8, v20, v21                              // 000000005DB8: D2A20008 00022B14
	v_cvt_pk_fp8_f32 v8, v22, v23 op_sel:[0,0,1]               // 000000005DC0: D2A24008 00022F16
	v_cvt_pk_fp8_f32 v9, v24, v25                              // 000000005DC8: D2A20009 00023318
	v_cvt_pk_fp8_f32 v9, v26, v27 op_sel:[0,0,1]               // 000000005DD0: D2A24009 0002371A
	v_cvt_pk_fp8_f32 v10, v28, v29                             // 000000005DD8: D2A2000A 00023B1C
	v_cvt_pk_fp8_f32 v10, v30, v31 op_sel:[0,0,1]              // 000000005DE0: D2A2400A 00023F1E
	v_cvt_pk_fp8_f32 v11, v32, v33                             // 000000005DE8: D2A2000B 00024320
	v_cvt_pk_fp8_f32 v11, v34, v35 op_sel:[0,0,1]              // 000000005DF0: D2A2400B 00024722
	v_cvt_pk_fp8_f32 v12, v36, v37                             // 000000005DF8: D2A2000C 00024B24
	v_cvt_pk_fp8_f32 v12, v38, v39 op_sel:[0,0,1]              // 000000005E00: D2A2400C 00024F26
	v_cvt_pk_fp8_f32 v13, v40, v41                             // 000000005E08: D2A2000D 00025328
	v_cvt_pk_fp8_f32 v13, v42, v43 op_sel:[0,0,1]              // 000000005E10: D2A2400D 0002572A
	v_mov_b32_dpp v14, v12 row_shl:8 row_mask:0xf bank_mask:0xf bound_ctrl:1// 000000005E18: 7E1C02FA FF09080C
	v_and_b32_e32 v12, v12, v224                               // 000000005E20: 2619C10C
	v_mov_b32_dpp v15, v13 row_shl:8 row_mask:0xf bank_mask:0xf bound_ctrl:1// 000000005E24: 7E1E02FA FF09080D
	v_and_b32_e32 v13, v13, v224                               // 000000005E2C: 261BC10D
	ds_write_b32 v254, v4 offset:8192                          // 000000005E30: D81A2000 000004FE
	ds_write_b32 v254, v5 offset:9216                          // 000000005E38: D81A2400 000005FE
	ds_write_b32 v254, v6 offset:10240                         // 000000005E40: D81A2800 000006FE
	ds_write_b32 v254, v7 offset:11264                         // 000000005E48: D81A2C00 000007FE
	ds_write_b32 v254, v8 offset:12288                         // 000000005E50: D81A3000 000008FE
	ds_write_b32 v254, v9 offset:13312                         // 000000005E58: D81A3400 000009FE
	ds_write_b32 v254, v10 offset:14336                        // 000000005E60: D81A3800 00000AFE
	ds_write_b32 v254, v11 offset:15360                        // 000000005E68: D81A3C00 00000BFE
	ds_write_b32 v254, v12 offset:16384                        // 000000005E70: D81A4000 00000CFE
	ds_write_b32 v254, v13 offset:17408                        // 000000005E78: D81A4400 00000DFE
	ds_write_b32 v254, v14 offset:18432                        // 000000005E80: D81A4800 00000EFE
	ds_write_b32 v254, v15 offset:19456                        // 000000005E88: D81A4C00 00000FFE
	v_rcp_f32_e32 v158, v188                                   // 000000005E90: 7F3C45BC
	v_rcp_f32_e32 v160, v190                                   // 000000005E94: 7F4045BE
	v_rcp_f32_e32 v162, v192                                   // 000000005E98: 7F4445C0
	v_mov_b32_e32 v159, v158                                   // 000000005E9C: 7F3E039E
	v_mov_b32_e32 v161, v160                                   // 000000005EA0: 7F4203A0
	v_mov_b32_e32 v163, v162                                   // 000000005EA4: 7F4603A2
	v_pk_add_f32 v[124:125], v[124:125], v[100:101]            // 000000005EA8: D3B2407C 1802C97C
	v_pk_add_f32 v[126:127], v[126:127], v[102:103]            // 000000005EB0: D3B2407E 1802CD7E
	v_pk_add_f32 v[128:129], v[128:129], v[104:105]            // 000000005EB8: D3B24080 1802D180
	v_pk_add_f32 v[130:131], v[130:131], v[106:107]            // 000000005EC0: D3B24082 1802D582
	v_pk_add_f32 v[132:133], v[132:133], v[108:109]            // 000000005EC8: D3B24084 1802D984
	v_pk_add_f32 v[134:135], v[134:135], v[110:111]            // 000000005ED0: D3B24086 1802DD86
	v_pk_add_f32 v[136:137], v[136:137], v[112:113]            // 000000005ED8: D3B24088 1802E188
	v_pk_add_f32 v[138:139], v[138:139], v[114:115]            // 000000005EE0: D3B2408A 1802E58A
	v_pk_add_f32 v[140:141], v[140:141], v[116:117]            // 000000005EE8: D3B2408C 1802E98C
	v_pk_add_f32 v[142:143], v[142:143], v[118:119]            // 000000005EF0: D3B2408E 1802ED8E
	v_pk_add_f32 v[144:145], v[144:145], v[120:121]            // 000000005EF8: D3B24090 1802F190
	v_pk_add_f32 v[146:147], v[146:147], v[122:123]            // 000000005F00: D3B24092 1802F592
	s_waitcnt lgkmcnt(0)                                       // 000000005F08: BF8CC07F
	s_barrier                                                  // 000000005F0C: BF8A0000
	ds_read_b128 v[4:7], v255 offset:8192                      // 000000005F10: D9FE2000 040000FF
	ds_read_b128 v[8:11], v255 offset:9216                     // 000000005F18: D9FE2400 080000FF
	ds_read_b128 v[12:15], v255 offset:10240                   // 000000005F20: D9FE2800 0C0000FF
	ds_read_b128 v[16:19], v255 offset:11264                   // 000000005F28: D9FE2C00 100000FF
	ds_read_b128 v[20:23], v255 offset:12288                   // 000000005F30: D9FE3000 140000FF
	ds_read_b128 v[24:27], v255 offset:13312                   // 000000005F38: D9FE3400 180000FF
	ds_read_b128 v[28:31], v255 offset:14336                   // 000000005F40: D9FE3800 1C0000FF
	ds_read_b128 v[32:35], v255 offset:15360                   // 000000005F48: D9FE3C00 200000FF
	ds_read_b128 v[36:39], v255 offset:16384                   // 000000005F50: D9FE4000 240000FF
	ds_read_b128 v[40:43], v255 offset:17408                   // 000000005F58: D9FE4400 280000FF
	ds_read_b128 v[44:47], v255 offset:18432                   // 000000005F60: D9FE4800 2C0000FF
	ds_read_b128 v[48:51], v255 offset:19456                   // 000000005F68: D9FE4C00 300000FF
	s_waitcnt vmcnt(10)                                        // 000000005F70: BF8C0F7A
	s_waitcnt lgkmcnt(11)                                      // 000000005F74: BF8CCB7F
	v_mfma_f32_16x16x32_fp8_fp8 v[100:103], a[88:89], v[4:5], 0// 000000005F78: D3F30064 0A020958
	v_mfma_f32_16x16x32_fp8_fp8 v[104:107], a[104:105], v[4:5], 0// 000000005F80: D3F30068 0A020968
	v_mfma_f32_16x16x32_fp8_fp8 v[100:103], a[90:91], v[6:7], v[100:103]// 000000005F88: D3F30064 0D920D5A
	buffer_load_dwordx4 a[120:123], v234, s[16:19], 0 offen    // 000000005F90: E05C1000 808478EA
	v_mfma_f32_16x16x32_fp8_fp8 v[104:107], a[106:107], v[6:7], v[104:107]// 000000005F98: D3F30068 0DA20D6A
	s_waitcnt lgkmcnt(10)                                      // 000000005FA0: BF8CCA7F
	v_mfma_f32_16x16x32_fp8_fp8 v[100:103], a[92:93], v[8:9], v[100:103]// 000000005FA4: D3F30064 0D92115C
	v_mfma_f32_16x16x32_fp8_fp8 v[104:107], a[108:109], v[8:9], v[104:107]// 000000005FAC: D3F30068 0DA2116C
	v_mfma_f32_16x16x32_fp8_fp8 v[100:103], a[94:95], v[10:11], v[100:103]// 000000005FB4: D3F30064 0D92155E
	buffer_load_dwordx4 a[124:127], v235, s[16:19], 0 offen    // 000000005FBC: E05C1000 80847CEB
	v_mfma_f32_16x16x32_fp8_fp8 v[104:107], a[110:111], v[10:11], v[104:107]// 000000005FC4: D3F30068 0DA2156E
	s_waitcnt lgkmcnt(9)                                       // 000000005FCC: BF8CC97F
	v_mfma_f32_16x16x32_fp8_fp8 v[100:103], a[96:97], v[12:13], v[100:103]// 000000005FD0: D3F30064 0D921960
	v_mfma_f32_16x16x32_fp8_fp8 v[104:107], a[112:113], v[12:13], v[104:107]// 000000005FD8: D3F30068 0DA21970
	v_mfma_f32_16x16x32_fp8_fp8 v[100:103], a[98:99], v[14:15], v[100:103]// 000000005FE0: D3F30064 0D921D62
	buffer_load_dwordx4 a[128:131], v236, s[16:19], 0 offen    // 000000005FE8: E05C1000 808480EC
	v_mfma_f32_16x16x32_fp8_fp8 v[104:107], a[114:115], v[14:15], v[104:107]// 000000005FF0: D3F30068 0DA21D72
	s_waitcnt lgkmcnt(8)                                       // 000000005FF8: BF8CC87F
	v_mfma_f32_16x16x32_fp8_fp8 v[100:103], a[100:101], v[16:17], v[100:103]// 000000005FFC: D3F30064 0D922164
	v_mfma_f32_16x16x32_fp8_fp8 v[104:107], a[116:117], v[16:17], v[104:107]// 000000006004: D3F30068 0DA22174
	v_mfma_f32_16x16x32_fp8_fp8 v[100:103], a[102:103], v[18:19], v[100:103]// 00000000600C: D3F30064 0D922566
	buffer_load_dwordx4 a[132:135], v237, s[16:19], 0 offen    // 000000006014: E05C1000 808484ED
	v_mfma_f32_16x16x32_fp8_fp8 v[104:107], a[118:119], v[18:19], v[104:107]// 00000000601C: D3F30068 0DA22576
	s_waitcnt lgkmcnt(7)                                       // 000000006024: BF8CC77F
	v_mfma_f32_16x16x32_fp8_fp8 v[108:111], a[88:89], v[20:21], 0// 000000006028: D3F3006C 0A022958
	v_mfma_f32_16x16x32_fp8_fp8 v[112:115], a[104:105], v[20:21], 0// 000000006030: D3F30070 0A022968
	v_mfma_f32_16x16x32_fp8_fp8 v[108:111], a[90:91], v[22:23], v[108:111]// 000000006038: D3F3006C 0DB22D5A
	buffer_load_dwordx4 a[136:139], v234, s[16:19], 0 offen offset:1024// 000000006040: E05C1400 808488EA
	v_mfma_f32_16x16x32_fp8_fp8 v[112:115], a[106:107], v[22:23], v[112:115]// 000000006048: D3F30070 0DC22D6A
	s_waitcnt lgkmcnt(6)                                       // 000000006050: BF8CC67F
	v_mfma_f32_16x16x32_fp8_fp8 v[108:111], a[92:93], v[24:25], v[108:111]// 000000006054: D3F3006C 0DB2315C
	v_mfma_f32_16x16x32_fp8_fp8 v[112:115], a[108:109], v[24:25], v[112:115]// 00000000605C: D3F30070 0DC2316C
	v_mfma_f32_16x16x32_fp8_fp8 v[108:111], a[94:95], v[26:27], v[108:111]// 000000006064: D3F3006C 0DB2355E
	buffer_load_dwordx4 a[140:143], v235, s[16:19], 0 offen offset:1024// 00000000606C: E05C1400 80848CEB
	v_mfma_f32_16x16x32_fp8_fp8 v[112:115], a[110:111], v[26:27], v[112:115]// 000000006074: D3F30070 0DC2356E
	s_waitcnt lgkmcnt(5)                                       // 00000000607C: BF8CC57F
	v_mfma_f32_16x16x32_fp8_fp8 v[108:111], a[96:97], v[28:29], v[108:111]// 000000006080: D3F3006C 0DB23960
	v_mfma_f32_16x16x32_fp8_fp8 v[112:115], a[112:113], v[28:29], v[112:115]// 000000006088: D3F30070 0DC23970
	v_mfma_f32_16x16x32_fp8_fp8 v[108:111], a[98:99], v[30:31], v[108:111]// 000000006090: D3F3006C 0DB23D62
	buffer_load_dwordx4 a[144:147], v236, s[16:19], 0 offen offset:1024// 000000006098: E05C1400 808490EC
	v_mfma_f32_16x16x32_fp8_fp8 v[112:115], a[114:115], v[30:31], v[112:115]// 0000000060A0: D3F30070 0DC23D72
	s_waitcnt lgkmcnt(4)                                       // 0000000060A8: BF8CC47F
	v_mfma_f32_16x16x32_fp8_fp8 v[108:111], a[100:101], v[32:33], v[108:111]// 0000000060AC: D3F3006C 0DB24164
	v_mfma_f32_16x16x32_fp8_fp8 v[112:115], a[116:117], v[32:33], v[112:115]// 0000000060B4: D3F30070 0DC24174
	v_mfma_f32_16x16x32_fp8_fp8 v[108:111], a[102:103], v[34:35], v[108:111]// 0000000060BC: D3F3006C 0DB24566
	buffer_load_dwordx4 a[148:151], v237, s[16:19], 0 offen offset:1024// 0000000060C4: E05C1400 808494ED
	v_mfma_f32_16x16x32_fp8_fp8 v[112:115], a[118:119], v[34:35], v[112:115]// 0000000060CC: D3F30070 0DC24576
	s_waitcnt lgkmcnt(3)                                       // 0000000060D4: BF8CC37F
	v_mfma_f32_16x16x32_fp8_fp8 v[116:119], a[88:89], v[36:37], 0// 0000000060D8: D3F30074 0A024958
	v_mfma_f32_16x16x32_fp8_fp8 v[120:123], a[104:105], v[36:37], 0// 0000000060E0: D3F30078 0A024968
	v_mfma_f32_16x16x32_fp8_fp8 v[116:119], a[90:91], v[38:39], v[116:119]// 0000000060E8: D3F30074 0DD24D5A
	v_mfma_f32_16x16x32_fp8_fp8 v[120:123], a[106:107], v[38:39], v[120:123]// 0000000060F0: D3F30078 0DE24D6A
	s_waitcnt lgkmcnt(2)                                       // 0000000060F8: BF8CC27F
	v_mfma_f32_16x16x32_fp8_fp8 v[116:119], a[92:93], v[40:41], v[116:119]// 0000000060FC: D3F30074 0DD2515C
	v_mfma_f32_16x16x32_fp8_fp8 v[120:123], a[108:109], v[40:41], v[120:123]// 000000006104: D3F30078 0DE2516C
	v_mfma_f32_16x16x32_fp8_fp8 v[116:119], a[94:95], v[42:43], v[116:119]// 00000000610C: D3F30074 0DD2555E
	v_mfma_f32_16x16x32_fp8_fp8 v[120:123], a[110:111], v[42:43], v[120:123]// 000000006114: D3F30078 0DE2556E
	s_waitcnt lgkmcnt(1)                                       // 00000000611C: BF8CC17F
	v_mfma_f32_16x16x32_fp8_fp8 v[116:119], a[96:97], v[44:45], v[116:119]// 000000006120: D3F30074 0DD25960
	v_mfma_f32_16x16x32_fp8_fp8 v[120:123], a[112:113], v[44:45], v[120:123]// 000000006128: D3F30078 0DE25970
	v_mfma_f32_16x16x32_fp8_fp8 v[116:119], a[98:99], v[46:47], v[116:119]// 000000006130: D3F30074 0DD25D62
	v_mfma_f32_16x16x32_fp8_fp8 v[120:123], a[114:115], v[46:47], v[120:123]// 000000006138: D3F30078 0DE25D72
	s_waitcnt lgkmcnt(0)                                       // 000000006140: BF8CC07F
	v_mfma_f32_16x16x32_fp8_fp8 v[116:119], a[100:101], v[48:49], v[116:119]// 000000006144: D3F30074 0DD26164
	v_mfma_f32_16x16x32_fp8_fp8 v[120:123], a[116:117], v[48:49], v[120:123]// 00000000614C: D3F30078 0DE26174
	v_mfma_f32_16x16x32_fp8_fp8 v[116:119], a[102:103], v[50:51], v[116:119]// 000000006154: D3F30074 0DD26566
	v_mfma_f32_16x16x32_fp8_fp8 v[120:123], a[118:119], v[50:51], v[120:123]// 00000000615C: D3F30078 0DE26576
	s_addk_i32 s64, 0x100                                      // 000000006164: B7400100
	s_cmp_lt_i32 s64, s63                                      // 000000006168: BF043F40
	s_cbranch_scc0 label_34DB                                  // 00000000616C: BF8425FF
	s_waitcnt vmcnt(10)                                        // 000000006170: BF8C0F7A
	v_mfma_f32_16x16x32_fp8_fp8 v[4:7], a[56:57], a[0:1], 0    // 000000006174: D3F30004 1A020138
	s_add_u32 s12, s86, s69                                    // 00000000617C: 800C4556
	s_addc_u32 s13, s87, 0                                     // 000000006180: 820D8057
	v_mfma_f32_16x16x32_fp8_fp8 v[4:7], a[58:59], a[2:3], v[4:7]// 000000006184: D3F30004 1C12053A
	s_add_u32 s16, s88, s70                                    // 00000000618C: 80104658
	s_addc_u32 s17, s89, 0                                     // 000000006190: 82118059
	v_mfma_f32_16x16x32_fp8_fp8 v[4:7], a[60:61], a[4:5], v[4:7]// 000000006194: D3F30004 1C12093C
	buffer_load_dwordx4 a[24:27], v232, s[12:15], 0 offen      // 00000000619C: E05C1000 808318E8
	v_mfma_f32_16x16x32_fp8_fp8 v[4:7], a[62:63], a[6:7], v[4:7]// 0000000061A4: D3F30004 1C120D3E
	s_add_u32 s20, s90, s71                                    // 0000000061AC: 8014475A
	s_addc_u32 s21, s91, 0                                     // 0000000061B0: 8215805B
	v_mfma_f32_16x16x32_fp8_fp8 v[8:11], a[64:65], a[0:1], 0   // 0000000061B4: D3F30008 1A020140
	s_add_u32 s24, s92, s71                                    // 0000000061BC: 8018475C
	s_addc_u32 s25, s93, 0                                     // 0000000061C0: 8219805D
	v_mfma_f32_16x16x32_fp8_fp8 v[8:11], a[66:67], a[2:3], v[8:11]// 0000000061C4: D3F30008 1C220542
	s_add_u32 s69, s69, 0x1000                                 // 0000000061CC: 8045FF45 00001000
	s_add_u32 s70, s70, 0x8000                                 // 0000000061D4: 8046FF46 00008000
	v_mfma_f32_16x16x32_fp8_fp8 v[8:11], a[68:69], a[4:5], v[8:11]// 0000000061DC: D3F30008 1C220944
	buffer_load_dwordx4 a[28:31], v233, s[12:15], 0 offen      // 0000000061E4: E05C1000 80831CE9
	v_mfma_f32_16x16x32_fp8_fp8 v[8:11], a[70:71], a[6:7], v[8:11]// 0000000061EC: D3F30008 1C220D46
	v_mfma_f32_16x16x32_fp8_fp8 v[12:15], a[72:73], a[0:1], 0  // 0000000061F4: D3F3000C 1A020148
	v_mfma_f32_16x16x32_fp8_fp8 v[12:15], a[74:75], a[2:3], v[12:15]// 0000000061FC: D3F3000C 1C32054A
	v_mfma_f32_16x16x32_fp8_fp8 v[12:15], a[76:77], a[4:5], v[12:15]// 000000006204: D3F3000C 1C32094C
	buffer_load_dwordx4 a[32:35], v232, s[12:15], 0 offen offset:1024// 00000000620C: E05C1400 808320E8
	v_mfma_f32_16x16x32_fp8_fp8 v[12:15], a[78:79], a[6:7], v[12:15]// 000000006214: D3F3000C 1C320D4E
	v_mfma_f32_16x16x32_fp8_fp8 v[16:19], a[80:81], a[0:1], 0  // 00000000621C: D3F30010 1A020150
	v_mfma_f32_16x16x32_fp8_fp8 v[16:19], a[82:83], a[2:3], v[16:19]// 000000006224: D3F30010 1C420552
	v_mfma_f32_16x16x32_fp8_fp8 v[16:19], a[84:85], a[4:5], v[16:19]// 00000000622C: D3F30010 1C420954
	buffer_load_dwordx4 a[36:39], v233, s[12:15], 0 offen offset:1024// 000000006234: E05C1400 808324E9
	v_mfma_f32_16x16x32_fp8_fp8 v[16:19], a[86:87], a[6:7], v[16:19]// 00000000623C: D3F30010 1C420D56
	v_mfma_f32_16x16x32_fp8_fp8 v[20:23], a[56:57], a[8:9], 0  // 000000006244: D3F30014 1A021138
	v_mfma_f32_16x16x32_fp8_fp8 v[20:23], a[58:59], a[10:11], v[20:23]// 00000000624C: D3F30014 1C52153A
	v_mfma_f32_16x16x32_fp8_fp8 v[20:23], a[60:61], a[12:13], v[20:23]// 000000006254: D3F30014 1C52193C
	buffer_load_dwordx4 a[40:43], v232, s[12:15], 0 offen offset:2048// 00000000625C: E05C1800 808328E8
	v_mfma_f32_16x16x32_fp8_fp8 v[20:23], a[62:63], a[14:15], v[20:23]// 000000006264: D3F30014 1C521D3E
	v_mfma_f32_16x16x32_fp8_fp8 v[24:27], a[64:65], a[8:9], 0  // 00000000626C: D3F30018 1A021140
	v_mfma_f32_16x16x32_fp8_fp8 v[24:27], a[66:67], a[10:11], v[24:27]// 000000006274: D3F30018 1C621542
	v_mfma_f32_16x16x32_fp8_fp8 v[24:27], a[68:69], a[12:13], v[24:27]// 00000000627C: D3F30018 1C621944
	buffer_load_dwordx4 a[44:47], v233, s[12:15], 0 offen offset:2048// 000000006284: E05C1800 80832CE9
	v_mfma_f32_16x16x32_fp8_fp8 v[24:27], a[70:71], a[14:15], v[24:27]// 00000000628C: D3F30018 1C621D46
	v_mfma_f32_16x16x32_fp8_fp8 v[28:31], a[72:73], a[8:9], 0  // 000000006294: D3F3001C 1A021148
	v_mfma_f32_16x16x32_fp8_fp8 v[28:31], a[74:75], a[10:11], v[28:31]// 00000000629C: D3F3001C 1C72154A
	v_mfma_f32_16x16x32_fp8_fp8 v[28:31], a[76:77], a[12:13], v[28:31]// 0000000062A4: D3F3001C 1C72194C
	buffer_load_dwordx4 a[48:51], v232, s[12:15], 0 offen offset:3072// 0000000062AC: E05C1C00 808330E8
	v_mfma_f32_16x16x32_fp8_fp8 v[28:31], a[78:79], a[14:15], v[28:31]// 0000000062B4: D3F3001C 1C721D4E
	v_mfma_f32_16x16x32_fp8_fp8 v[32:35], a[80:81], a[8:9], 0  // 0000000062BC: D3F30020 1A021150
	v_mfma_f32_16x16x32_fp8_fp8 v[32:35], a[82:83], a[10:11], v[32:35]// 0000000062C4: D3F30020 1C821552
	v_mfma_f32_16x16x32_fp8_fp8 v[32:35], a[84:85], a[12:13], v[32:35]// 0000000062CC: D3F30020 1C821954
	buffer_load_dwordx4 a[52:55], v233, s[12:15], 0 offen offset:3072// 0000000062D4: E05C1C00 808334E9
	v_mfma_f32_16x16x32_fp8_fp8 v[32:35], a[86:87], a[14:15], v[32:35]// 0000000062DC: D3F30020 1C821D56
	v_mfma_f32_16x16x32_fp8_fp8 v[36:39], a[56:57], a[16:17], 0// 0000000062E4: D3F30024 1A022138
	v_mfma_f32_16x16x32_fp8_fp8 v[36:39], a[58:59], a[18:19], v[36:39]// 0000000062EC: D3F30024 1C92253A
	v_mfma_f32_16x16x32_fp8_fp8 v[36:39], a[60:61], a[20:21], v[36:39]// 0000000062F4: D3F30024 1C92293C
	v_mfma_f32_16x16x32_fp8_fp8 v[36:39], a[62:63], a[22:23], v[36:39]// 0000000062FC: D3F30024 1C922D3E
	v_mfma_f32_16x16x32_fp8_fp8 v[40:43], a[64:65], a[16:17], 0// 000000006304: D3F30028 1A022140
	v_mfma_f32_16x16x32_fp8_fp8 v[40:43], a[66:67], a[18:19], v[40:43]// 00000000630C: D3F30028 1CA22542
	v_mfma_f32_16x16x32_fp8_fp8 v[40:43], a[68:69], a[20:21], v[40:43]// 000000006314: D3F30028 1CA22944
	v_mfma_f32_16x16x32_fp8_fp8 v[40:43], a[70:71], a[22:23], v[40:43]// 00000000631C: D3F30028 1CA22D46
	v_mfma_f32_16x16x32_fp8_fp8 v[44:47], a[72:73], a[16:17], 0// 000000006324: D3F3002C 1A022148
	v_mfma_f32_16x16x32_fp8_fp8 v[44:47], a[74:75], a[18:19], v[44:47]// 00000000632C: D3F3002C 1CB2254A
	v_mfma_f32_16x16x32_fp8_fp8 v[44:47], a[76:77], a[20:21], v[44:47]// 000000006334: D3F3002C 1CB2294C
	v_mfma_f32_16x16x32_fp8_fp8 v[44:47], a[78:79], a[22:23], v[44:47]// 00000000633C: D3F3002C 1CB22D4E
	v_mfma_f32_16x16x32_fp8_fp8 v[48:51], a[80:81], a[16:17], 0// 000000006344: D3F30030 1A022150
	v_mfma_f32_16x16x32_fp8_fp8 v[48:51], a[82:83], a[18:19], v[48:51]// 00000000634C: D3F30030 1CC22552
	v_mfma_f32_16x16x32_fp8_fp8 v[48:51], a[84:85], a[20:21], v[48:51]// 000000006354: D3F30030 1CC22954
	v_mfma_f32_16x16x32_fp8_fp8 v[48:51], a[86:87], a[22:23], v[48:51]// 00000000635C: D3F30030 1CC22D56
	s_waitcnt vmcnt(16)                                        // 000000006364: BF8C4F70
	v_or_b32_dpp v36, v44, v36 row_shr:8 row_mask:0xf bank_mask:0xf bound_ctrl:1// 000000006368: 284848FA FF09182C
	v_or_b32_dpp v37, v45, v37 row_shr:8 row_mask:0xf bank_mask:0xf bound_ctrl:1// 000000006370: 284A4AFA FF09182D
	v_or_b32_dpp v38, v46, v38 row_shr:8 row_mask:0xf bank_mask:0xf bound_ctrl:1// 000000006378: 284C4CFA FF09182E
	v_or_b32_dpp v39, v47, v39 row_shr:8 row_mask:0xf bank_mask:0xf bound_ctrl:1// 000000006380: 284E4EFA FF09182F
	v_or_b32_dpp v40, v48, v40 row_shr:8 row_mask:0xf bank_mask:0xf bound_ctrl:1// 000000006388: 285050FA FF091830
	v_or_b32_dpp v41, v49, v41 row_shr:8 row_mask:0xf bank_mask:0xf bound_ctrl:1// 000000006390: 285252FA FF091831
	v_or_b32_dpp v42, v50, v42 row_shr:8 row_mask:0xf bank_mask:0xf bound_ctrl:1// 000000006398: 285454FA FF091832
	v_or_b32_dpp v43, v51, v43 row_shr:8 row_mask:0xf bank_mask:0xf bound_ctrl:1// 0000000063A0: 285656FA FF091833
	v_pk_mul_f32 v[4:5], v[148:149], v[4:5]                    // 0000000063A8: D3B14004 18020994
	v_pk_mul_f32 v[6:7], v[148:149], v[6:7]                    // 0000000063B0: D3B14006 18020D94
	v_pk_mul_f32 v[8:9], v[148:149], v[8:9]                    // 0000000063B8: D3B14008 18021194
	v_pk_mul_f32 v[10:11], v[148:149], v[10:11]                // 0000000063C0: D3B1400A 18021594
	v_pk_mul_f32 v[12:13], v[148:149], v[12:13]                // 0000000063C8: D3B1400C 18021994
	v_pk_mul_f32 v[14:15], v[148:149], v[14:15]                // 0000000063D0: D3B1400E 18021D94
	v_pk_mul_f32 v[16:17], v[148:149], v[16:17]                // 0000000063D8: D3B14010 18022194
	v_pk_mul_f32 v[18:19], v[148:149], v[18:19]                // 0000000063E0: D3B14012 18022594
	v_mul_f32_e32 v4, v155, v4                                 // 0000000063E8: 0A08099B
	v_mul_f32_e32 v5, v155, v5                                 // 0000000063EC: 0A0A0B9B
	v_mul_f32_e32 v6, v155, v6                                 // 0000000063F0: 0A0C0D9B
	v_mul_f32_e32 v7, v155, v7                                 // 0000000063F4: 0A0E0F9B
	v_mul_f32_e32 v8, v155, v8                                 // 0000000063F8: 0A10119B
	v_mul_f32_e32 v9, v155, v9                                 // 0000000063FC: 0A12139B
	v_mul_f32_e32 v10, v155, v10                               // 000000006400: 0A14159B
	v_mul_f32_e32 v11, v155, v11                               // 000000006404: 0A16179B
	v_mul_f32_e32 v12, v155, v12                               // 000000006408: 0A18199B
	v_mul_f32_e32 v13, v155, v13                               // 00000000640C: 0A1A1B9B
	v_mul_f32_e32 v14, v155, v14                               // 000000006410: 0A1C1D9B
	v_mul_f32_e32 v15, v155, v15                               // 000000006414: 0A1E1F9B
	v_mul_f32_e32 v16, v155, v16                               // 000000006418: 0A20219B
	v_mul_f32_e32 v17, v155, v17                               // 00000000641C: 0A22239B
	v_mul_f32_e32 v18, v155, v18                               // 000000006420: 0A24259B
	v_mul_f32_e32 v19, v155, v19                               // 000000006424: 0A26279B
	v_pk_mul_f32 v[20:21], v[150:151], v[20:21]                // 000000006428: D3B14014 18022996
	v_pk_mul_f32 v[22:23], v[150:151], v[22:23]                // 000000006430: D3B14016 18022D96
	v_pk_mul_f32 v[24:25], v[150:151], v[24:25]                // 000000006438: D3B14018 18023196
	v_pk_mul_f32 v[26:27], v[150:151], v[26:27]                // 000000006440: D3B1401A 18023596
	v_pk_mul_f32 v[28:29], v[150:151], v[28:29]                // 000000006448: D3B1401C 18023996
	v_pk_mul_f32 v[30:31], v[150:151], v[30:31]                // 000000006450: D3B1401E 18023D96
	v_pk_mul_f32 v[32:33], v[150:151], v[32:33]                // 000000006458: D3B14020 18024196
	v_pk_mul_f32 v[34:35], v[150:151], v[34:35]                // 000000006460: D3B14022 18024596
	v_mul_f32_e32 v20, v155, v20                               // 000000006468: 0A28299B
	v_mul_f32_e32 v21, v155, v21                               // 00000000646C: 0A2A2B9B
	v_mul_f32_e32 v22, v155, v22                               // 000000006470: 0A2C2D9B
	v_mul_f32_e32 v23, v155, v23                               // 000000006474: 0A2E2F9B
	v_mul_f32_e32 v24, v155, v24                               // 000000006478: 0A30319B
	v_mul_f32_e32 v25, v155, v25                               // 00000000647C: 0A32339B
	v_mul_f32_e32 v26, v155, v26                               // 000000006480: 0A34359B
	v_mul_f32_e32 v27, v155, v27                               // 000000006484: 0A36379B
	v_mul_f32_e32 v28, v155, v28                               // 000000006488: 0A38399B
	v_mul_f32_e32 v29, v155, v29                               // 00000000648C: 0A3A3B9B
	v_mul_f32_e32 v30, v155, v30                               // 000000006490: 0A3C3D9B
	v_mul_f32_e32 v31, v155, v31                               // 000000006494: 0A3E3F9B
	v_mul_f32_e32 v32, v155, v32                               // 000000006498: 0A40419B
	v_mul_f32_e32 v33, v155, v33                               // 00000000649C: 0A42439B
	v_mul_f32_e32 v34, v155, v34                               // 0000000064A0: 0A44459B
	v_mul_f32_e32 v35, v155, v35                               // 0000000064A4: 0A46479B
	v_pk_mul_f32 v[36:37], v[152:153], v[36:37]                // 0000000064A8: D3B14024 18024998
	v_pk_mul_f32 v[38:39], v[152:153], v[38:39]                // 0000000064B0: D3B14026 18024D98
	v_pk_mul_f32 v[40:41], v[152:153], v[40:41]                // 0000000064B8: D3B14028 18025198
	v_pk_mul_f32 v[42:43], v[152:153], v[42:43]                // 0000000064C0: D3B1402A 18025598
	v_mul_f32_e32 v36, v155, v36                               // 0000000064C8: 0A48499B
	v_mul_f32_e32 v37, v155, v37                               // 0000000064CC: 0A4A4B9B
	v_mul_f32_e32 v38, v155, v38                               // 0000000064D0: 0A4C4D9B
	v_mul_f32_e32 v39, v155, v39                               // 0000000064D4: 0A4E4F9B
	v_mul_f32_e32 v40, v155, v40                               // 0000000064D8: 0A50519B
	v_mul_f32_e32 v41, v155, v41                               // 0000000064DC: 0A52539B
	v_mul_f32_e32 v42, v155, v42                               // 0000000064E0: 0A54559B
	v_mul_f32_e32 v43, v155, v43                               // 0000000064E4: 0A56579B
	v_mov_b32_e32 v190, v36                                    // 0000000064E8: 7F7C0324
	v_max3_f32 v190, v36, v37, v190                            // 0000000064EC: D1D300BE 06FA4B24
	v_max3_f32 v190, v38, v39, v190                            // 0000000064F4: D1D300BE 06FA4F26
	v_max3_f32 v190, v40, v41, v190                            // 0000000064FC: D1D300BE 06FA5328
	v_max3_f32 v190, v42, v43, v190                            // 000000006504: D1D300BE 06FA572A
	v_mov_b32_e32 v189, v20                                    // 00000000650C: 7F7A0314
	v_max3_f32 v189, v20, v21, v189                            // 000000006510: D1D300BD 06F62B14
	v_max3_f32 v189, v22, v23, v189                            // 000000006518: D1D300BD 06F62F16
	v_max3_f32 v189, v24, v25, v189                            // 000000006520: D1D300BD 06F63318
	v_max3_f32 v189, v26, v27, v189                            // 000000006528: D1D300BD 06F6371A
	v_max3_f32 v189, v28, v29, v189                            // 000000006530: D1D300BD 06F63B1C
	v_max3_f32 v189, v30, v31, v189                            // 000000006538: D1D300BD 06F63F1E
	v_max3_f32 v189, v32, v33, v189                            // 000000006540: D1D300BD 06F64320
	v_max3_f32 v189, v34, v35, v189                            // 000000006548: D1D300BD 06F64722
	v_mov_b32_e32 v188, v4                                     // 000000006550: 7F780304
	v_max3_f32 v188, v4, v5, v188                              // 000000006554: D1D300BC 06F20B04
	v_max3_f32 v188, v6, v7, v188                              // 00000000655C: D1D300BC 06F20F06
	v_max3_f32 v188, v8, v9, v188                              // 000000006564: D1D300BC 06F21308
	v_max3_f32 v188, v10, v11, v188                            // 00000000656C: D1D300BC 06F2170A
	v_max3_f32 v188, v12, v13, v188                            // 000000006574: D1D300BC 06F21B0C
	v_max3_f32 v188, v14, v15, v188                            // 00000000657C: D1D300BC 06F21F0E
	v_max3_f32 v188, v16, v17, v188                            // 000000006584: D1D300BC 06F22310
	v_max3_f32 v188, v18, v19, v188                            // 00000000658C: D1D300BC 06F22712
	v_max_f32_dpp v190, v190, v190 row_ror:8 row_mask:0xf bank_mask:0xf// 000000006594: 177D7CFA FF0128BE
	ds_bpermute_b32 v172, v212, v188                           // 00000000659C: D87E0000 AC00BCD4
	ds_bpermute_b32 v173, v213, v188                           // 0000000065A4: D87E0000 AD00BCD5
	ds_bpermute_b32 v174, v214, v188                           // 0000000065AC: D87E0000 AE00BCD6
	ds_bpermute_b32 v175, v212, v189                           // 0000000065B4: D87E0000 AF00BDD4
	ds_bpermute_b32 v176, v213, v189                           // 0000000065BC: D87E0000 B000BDD5
	ds_bpermute_b32 v177, v214, v189                           // 0000000065C4: D87E0000 B100BDD6
	ds_bpermute_b32 v178, v212, v190                           // 0000000065CC: D87E0000 B200BED4
	ds_bpermute_b32 v179, v213, v190                           // 0000000065D4: D87E0000 B300BED5
	ds_bpermute_b32 v180, v214, v190                           // 0000000065DC: D87E0000 B400BED6
	v_pk_mul_f32 v[124:125], v[200:201], v[124:125]            // 0000000065E4: D3B1407C 1802F9C8
	v_pk_mul_f32 v[126:127], v[200:201], v[126:127]            // 0000000065EC: D3B1407E 1802FDC8
	v_pk_mul_f32 v[128:129], v[200:201], v[128:129]            // 0000000065F4: D3B14080 180301C8
	v_pk_mul_f32 v[130:131], v[200:201], v[130:131]            // 0000000065FC: D3B14082 180305C8
	v_pk_mul_f32 v[132:133], v[202:203], v[132:133]            // 000000006604: D3B14084 180309CA
	v_pk_mul_f32 v[134:135], v[202:203], v[134:135]            // 00000000660C: D3B14086 18030DCA
	v_pk_mul_f32 v[136:137], v[202:203], v[136:137]            // 000000006614: D3B14088 180311CA
	v_pk_mul_f32 v[138:139], v[202:203], v[138:139]            // 00000000661C: D3B1408A 180315CA
	v_pk_mul_f32 v[140:141], v[204:205], v[140:141]            // 000000006624: D3B1408C 180319CC
	v_pk_mul_f32 v[142:143], v[204:205], v[142:143]            // 00000000662C: D3B1408E 18031DCC
	v_pk_mul_f32 v[144:145], v[204:205], v[144:145]            // 000000006634: D3B14090 180321CC
	v_pk_mul_f32 v[146:147], v[204:205], v[146:147]            // 00000000663C: D3B14092 180325CC
	s_waitcnt lgkmcnt(6)                                       // 000000006644: BF8CC67F
	v_max3_f32 v188, v172, v173, v188                          // 000000006648: D1D300BC 06F35BAC
	v_max_f32_e32 v188, v174, v188                             // 000000006650: 177979AE
	s_waitcnt lgkmcnt(3)                                       // 000000006654: BF8CC37F
	v_max3_f32 v189, v175, v176, v189                          // 000000006658: D1D300BD 06F761AF
	v_max_f32_e32 v189, v177, v189                             // 000000006660: 177B7BB1
	s_waitcnt lgkmcnt(0)                                       // 000000006664: BF8CC07F
	v_max3_f32 v190, v178, v179, v190                          // 000000006668: D1D300BE 06FB67B2
	v_max_f32_e32 v190, v180, v190                             // 000000006670: 177D7DB4
	ds_write_b128 v252, v[188:191]                             // 000000006674: D9BE0000 0000BCFC
	s_waitcnt lgkmcnt(0)                                       // 00000000667C: BF8CC07F
	s_barrier                                                  // 000000006680: BF8A0000
	ds_read_b128 v[172:175], v253                              // 000000006684: D9FE0000 AC0000FD
	ds_read_b128 v[176:179], v253 offset:256                   // 00000000668C: D9FE0100 B00000FD
	ds_read_b128 v[180:183], v253 offset:512                   // 000000006694: D9FE0200 B40000FD
	ds_read_b128 v[184:187], v253 offset:768                   // 00000000669C: D9FE0300 B80000FD
	v_pk_mul_f32 v[100:101], v[158:159], v[100:101]            // 0000000066A4: D3B14064 1802C99E
	v_pk_mul_f32 v[102:103], v[158:159], v[102:103]            // 0000000066AC: D3B14066 1802CD9E
	v_pk_mul_f32 v[104:105], v[158:159], v[104:105]            // 0000000066B4: D3B14068 1802D19E
	v_pk_mul_f32 v[106:107], v[158:159], v[106:107]            // 0000000066BC: D3B1406A 1802D59E
	v_pk_mul_f32 v[108:109], v[160:161], v[108:109]            // 0000000066C4: D3B1406C 1802D9A0
	v_pk_mul_f32 v[110:111], v[160:161], v[110:111]            // 0000000066CC: D3B1406E 1802DDA0
	v_pk_mul_f32 v[112:113], v[160:161], v[112:113]            // 0000000066D4: D3B14070 1802E1A0
	v_pk_mul_f32 v[114:115], v[160:161], v[114:115]            // 0000000066DC: D3B14072 1802E5A0
	v_pk_mul_f32 v[116:117], v[162:163], v[116:117]            // 0000000066E4: D3B14074 1802E9A2
	v_pk_mul_f32 v[118:119], v[162:163], v[118:119]            // 0000000066EC: D3B14076 1802EDA2
	v_pk_mul_f32 v[120:121], v[162:163], v[120:121]            // 0000000066F4: D3B14078 1802F1A2
	v_pk_mul_f32 v[122:123], v[162:163], v[122:123]            // 0000000066FC: D3B1407A 1802F5A2
	s_waitcnt lgkmcnt(0)                                       // 000000006704: BF8CC07F
	v_max3_f32 v188, v172, v176, v188                          // 000000006708: D1D300BC 06F361AC
	v_max3_f32 v189, v173, v177, v189                          // 000000006710: D1D300BD 06F763AD
	v_max3_f32 v190, v174, v178, v190                          // 000000006718: D1D300BE 06FB65AE
	v_max3_f32 v188, v180, v184, v188                          // 000000006720: D1D300BC 06F371B4
	v_max3_f32 v189, v181, v185, v189                          // 000000006728: D1D300BD 06F773B5
	v_max3_f32 v190, v182, v186, v190                          // 000000006730: D1D300BE 06FB75B6
	v_max_f32_e32 v197, v188, v194                             // 000000006738: 178B85BC
	v_mul_f32_e64 v168, -s46, v197                             // 00000000673C: D10500A8 20038A2E
	v_mov_b32_e32 v169, v168                                   // 000000006744: 7F5203A8
	v_pk_fma_f32 v[4:5], v[4:5], s[46:47], v[168:169]          // 000000006748: D3B04004 1EA05D04
	v_pk_fma_f32 v[6:7], v[6:7], s[46:47], v[168:169]          // 000000006750: D3B04006 1EA05D06
	v_exp_f32_e32 v4, v4                                       // 000000006758: 7E084104
	v_exp_f32_e32 v5, v5                                       // 00000000675C: 7E0A4105
	v_exp_f32_e32 v6, v6                                       // 000000006760: 7E0C4106
	v_exp_f32_e32 v7, v7                                       // 000000006764: 7E0E4107
	v_pk_fma_f32 v[8:9], v[8:9], s[46:47], v[168:169]          // 000000006768: D3B04008 1EA05D08
	v_pk_fma_f32 v[10:11], v[10:11], s[46:47], v[168:169]      // 000000006770: D3B0400A 1EA05D0A
	v_exp_f32_e32 v8, v8                                       // 000000006778: 7E104108
	v_exp_f32_e32 v9, v9                                       // 00000000677C: 7E124109
	v_exp_f32_e32 v10, v10                                     // 000000006780: 7E14410A
	v_exp_f32_e32 v11, v11                                     // 000000006784: 7E16410B
	v_pk_fma_f32 v[12:13], v[12:13], s[46:47], v[168:169]      // 000000006788: D3B0400C 1EA05D0C
	v_pk_fma_f32 v[14:15], v[14:15], s[46:47], v[168:169]      // 000000006790: D3B0400E 1EA05D0E
	v_exp_f32_e32 v12, v12                                     // 000000006798: 7E18410C
	v_exp_f32_e32 v13, v13                                     // 00000000679C: 7E1A410D
	v_exp_f32_e32 v14, v14                                     // 0000000067A0: 7E1C410E
	v_exp_f32_e32 v15, v15                                     // 0000000067A4: 7E1E410F
	v_pk_fma_f32 v[16:17], v[16:17], s[46:47], v[168:169]      // 0000000067A8: D3B04010 1EA05D10
	v_pk_fma_f32 v[18:19], v[18:19], s[46:47], v[168:169]      // 0000000067B0: D3B04012 1EA05D12
	v_exp_f32_e32 v16, v16                                     // 0000000067B8: 7E204110
	v_exp_f32_e32 v17, v17                                     // 0000000067BC: 7E224111
	v_exp_f32_e32 v18, v18                                     // 0000000067C0: 7E244112
	v_exp_f32_e32 v19, v19                                     // 0000000067C4: 7E264113
	v_max_f32_e32 v198, v189, v195                             // 0000000067C8: 178D87BD
	v_mul_f32_e64 v168, -s46, v198                             // 0000000067CC: D10500A8 20038C2E
	v_mov_b32_e32 v169, v168                                   // 0000000067D4: 7F5203A8
	v_pk_fma_f32 v[20:21], v[20:21], s[46:47], v[168:169]      // 0000000067D8: D3B04014 1EA05D14
	v_pk_fma_f32 v[22:23], v[22:23], s[46:47], v[168:169]      // 0000000067E0: D3B04016 1EA05D16
	v_exp_f32_e32 v20, v20                                     // 0000000067E8: 7E284114
	v_exp_f32_e32 v21, v21                                     // 0000000067EC: 7E2A4115
	v_exp_f32_e32 v22, v22                                     // 0000000067F0: 7E2C4116
	v_exp_f32_e32 v23, v23                                     // 0000000067F4: 7E2E4117
	v_pk_fma_f32 v[24:25], v[24:25], s[46:47], v[168:169]      // 0000000067F8: D3B04018 1EA05D18
	v_pk_fma_f32 v[26:27], v[26:27], s[46:47], v[168:169]      // 000000006800: D3B0401A 1EA05D1A
	v_exp_f32_e32 v24, v24                                     // 000000006808: 7E304118
	v_exp_f32_e32 v25, v25                                     // 00000000680C: 7E324119
	v_exp_f32_e32 v26, v26                                     // 000000006810: 7E34411A
	v_exp_f32_e32 v27, v27                                     // 000000006814: 7E36411B
	v_pk_fma_f32 v[28:29], v[28:29], s[46:47], v[168:169]      // 000000006818: D3B0401C 1EA05D1C
	v_pk_fma_f32 v[30:31], v[30:31], s[46:47], v[168:169]      // 000000006820: D3B0401E 1EA05D1E
	v_exp_f32_e32 v28, v28                                     // 000000006828: 7E38411C
	v_exp_f32_e32 v29, v29                                     // 00000000682C: 7E3A411D
	v_exp_f32_e32 v30, v30                                     // 000000006830: 7E3C411E
	v_exp_f32_e32 v31, v31                                     // 000000006834: 7E3E411F
	v_pk_fma_f32 v[32:33], v[32:33], s[46:47], v[168:169]      // 000000006838: D3B04020 1EA05D20
	v_pk_fma_f32 v[34:35], v[34:35], s[46:47], v[168:169]      // 000000006840: D3B04022 1EA05D22
	v_exp_f32_e32 v32, v32                                     // 000000006848: 7E404120
	v_exp_f32_e32 v33, v33                                     // 00000000684C: 7E424121
	v_exp_f32_e32 v34, v34                                     // 000000006850: 7E444122
	v_exp_f32_e32 v35, v35                                     // 000000006854: 7E464123
	v_max_f32_e32 v199, v190, v196                             // 000000006858: 178F89BE
	v_mul_f32_e64 v168, -s46, v199                             // 00000000685C: D10500A8 20038E2E
	v_mov_b32_e32 v169, v168                                   // 000000006864: 7F5203A8
	v_pk_fma_f32 v[36:37], v[36:37], s[46:47], v[168:169]      // 000000006868: D3B04024 1EA05D24
	v_pk_fma_f32 v[38:39], v[38:39], s[46:47], v[168:169]      // 000000006870: D3B04026 1EA05D26
	v_exp_f32_e32 v36, v36                                     // 000000006878: 7E484124
	v_exp_f32_e32 v37, v37                                     // 00000000687C: 7E4A4125
	v_exp_f32_e32 v38, v38                                     // 000000006880: 7E4C4126
	v_exp_f32_e32 v39, v39                                     // 000000006884: 7E4E4127
	v_pk_fma_f32 v[40:41], v[40:41], s[46:47], v[168:169]      // 000000006888: D3B04028 1EA05D28
	v_pk_fma_f32 v[42:43], v[42:43], s[46:47], v[168:169]      // 000000006890: D3B0402A 1EA05D2A
	v_exp_f32_e32 v40, v40                                     // 000000006898: 7E504128
	v_exp_f32_e32 v41, v41                                     // 00000000689C: 7E524129
	v_exp_f32_e32 v42, v42                                     // 0000000068A0: 7E54412A
	v_exp_f32_e32 v43, v43                                     // 0000000068A4: 7E56412B
	v_mul_f32_e32 v52, v157, v4                                // 0000000068A8: 0A68099D
	v_mul_f32_e32 v53, v157, v5                                // 0000000068AC: 0A6A0B9D
	v_mul_f32_e32 v54, v157, v6                                // 0000000068B0: 0A6C0D9D
	v_mul_f32_e32 v55, v157, v7                                // 0000000068B4: 0A6E0F9D
	v_mul_f32_e32 v56, v157, v8                                // 0000000068B8: 0A70119D
	v_mul_f32_e32 v57, v157, v9                                // 0000000068BC: 0A72139D
	v_mul_f32_e32 v58, v157, v10                               // 0000000068C0: 0A74159D
	v_mul_f32_e32 v59, v157, v11                               // 0000000068C4: 0A76179D
	v_mul_f32_e32 v60, v157, v12                               // 0000000068C8: 0A78199D
	v_mul_f32_e32 v61, v157, v13                               // 0000000068CC: 0A7A1B9D
	v_mul_f32_e32 v62, v157, v14                               // 0000000068D0: 0A7C1D9D
	v_mul_f32_e32 v63, v157, v15                               // 0000000068D4: 0A7E1F9D
	v_mul_f32_e32 v64, v157, v16                               // 0000000068D8: 0A80219D
	v_mul_f32_e32 v65, v157, v17                               // 0000000068DC: 0A82239D
	v_mul_f32_e32 v66, v157, v18                               // 0000000068E0: 0A84259D
	v_mul_f32_e32 v67, v157, v19                               // 0000000068E4: 0A86279D
	v_mul_f32_e32 v68, v157, v20                               // 0000000068E8: 0A88299D
	v_mul_f32_e32 v69, v157, v21                               // 0000000068EC: 0A8A2B9D
	v_mul_f32_e32 v70, v157, v22                               // 0000000068F0: 0A8C2D9D
	v_mul_f32_e32 v71, v157, v23                               // 0000000068F4: 0A8E2F9D
	v_mul_f32_e32 v72, v157, v24                               // 0000000068F8: 0A90319D
	v_mul_f32_e32 v73, v157, v25                               // 0000000068FC: 0A92339D
	v_mul_f32_e32 v74, v157, v26                               // 000000006900: 0A94359D
	v_mul_f32_e32 v75, v157, v27                               // 000000006904: 0A96379D
	v_mul_f32_e32 v76, v157, v28                               // 000000006908: 0A98399D
	v_mul_f32_e32 v77, v157, v29                               // 00000000690C: 0A9A3B9D
	v_mul_f32_e32 v78, v157, v30                               // 000000006910: 0A9C3D9D
	v_mul_f32_e32 v79, v157, v31                               // 000000006914: 0A9E3F9D
	v_mul_f32_e32 v80, v157, v32                               // 000000006918: 0AA0419D
	v_mul_f32_e32 v81, v157, v33                               // 00000000691C: 0AA2439D
	v_mul_f32_e32 v82, v157, v34                               // 000000006920: 0AA4459D
	v_mul_f32_e32 v83, v157, v35                               // 000000006924: 0AA6479D
	v_mul_f32_e32 v84, v157, v36                               // 000000006928: 0AA8499D
	v_mul_f32_e32 v85, v157, v37                               // 00000000692C: 0AAA4B9D
	v_mul_f32_e32 v86, v157, v38                               // 000000006930: 0AAC4D9D
	v_mul_f32_e32 v87, v157, v39                               // 000000006934: 0AAE4F9D
	v_mul_f32_e32 v88, v157, v40                               // 000000006938: 0AB0519D
	v_mul_f32_e32 v89, v157, v41                               // 00000000693C: 0AB2539D
	v_mul_f32_e32 v90, v157, v42                               // 000000006940: 0AB4559D
	v_mul_f32_e32 v91, v157, v43                               // 000000006944: 0AB6579D
	buffer_load_dword v154, v238, s[20:23], 0 offen            // 000000006948: E0501000 80059AEE
	v_sub_f32_e32 v200, v194, v197                             // 000000006950: 05918BC2
	v_cmp_eq_u32_e64 s[98:99], v225, v194                      // 000000006954: D0CA0062 000385E1
	v_cndmask_b32_e64 v200, v200, 0, s[98:99]                  // 00000000695C: D10000C8 018901C8
	v_mov_b32_e32 v194, v197                                   // 000000006964: 7F8403C5
	v_mul_f32_e32 v200, s46, v200                              // 000000006968: 0B91902E
	v_exp_f32_e32 v200, v200                                   // 00000000696C: 7F9041C8
	v_sub_f32_e32 v202, v195, v198                             // 000000006970: 05958DC3
	v_cmp_eq_u32_e64 s[98:99], v225, v195                      // 000000006974: D0CA0062 000387E1
	v_cndmask_b32_e64 v202, v202, 0, s[98:99]                  // 00000000697C: D10000CA 018901CA
	v_mov_b32_e32 v195, v198                                   // 000000006984: 7F8603C6
	v_mul_f32_e32 v202, s46, v202                              // 000000006988: 0B95942E
	v_exp_f32_e32 v202, v202                                   // 00000000698C: 7F9441CA
	v_sub_f32_e32 v204, v196, v199                             // 000000006990: 05998FC4
	v_cmp_eq_u32_e64 s[98:99], v225, v196                      // 000000006994: D0CA0062 000389E1
	v_cndmask_b32_e64 v204, v204, 0, s[98:99]                  // 00000000699C: D10000CC 018901CC
	v_mov_b32_e32 v196, v199                                   // 0000000069A4: 7F8803C7
	v_mul_f32_e32 v204, s46, v204                              // 0000000069A8: 0B99982E
	v_exp_f32_e32 v204, v204                                   // 0000000069AC: 7F9841CC
	v_mov_b32_e32 v201, v200                                   // 0000000069B0: 7F9203C8
	v_mov_b32_e32 v203, v202                                   // 0000000069B4: 7F9603CA
	v_mov_b32_e32 v205, v204                                   // 0000000069B8: 7F9A03CC
	s_waitcnt lgkmcnt(0)                                       // 0000000069BC: BF8CC07F
	s_barrier                                                  // 0000000069C0: BF8A0000
	buffer_load_dword v156, v239, s[24:27], 0 offen            // 0000000069C4: E0501000 80069CEF
	v_mul_f32_e32 v206, v200, v206                             // 0000000069CC: 0B9D9DC8
	v_mov_b32_e32 v207, 0                                      // 0000000069D0: 7F9E0280
	v_pk_add_f32 v[206:207], v[4:5], v[206:207]                // 0000000069D4: D3B240CE 18039D04
	v_pk_add_f32 v[206:207], v[6:7], v[206:207]                // 0000000069DC: D3B240CE 18039D06
	v_pk_add_f32 v[206:207], v[8:9], v[206:207]                // 0000000069E4: D3B240CE 18039D08
	v_pk_add_f32 v[206:207], v[10:11], v[206:207]              // 0000000069EC: D3B240CE 18039D0A
	v_pk_add_f32 v[206:207], v[12:13], v[206:207]              // 0000000069F4: D3B240CE 18039D0C
	v_pk_add_f32 v[206:207], v[14:15], v[206:207]              // 0000000069FC: D3B240CE 18039D0E
	v_pk_add_f32 v[206:207], v[16:17], v[206:207]              // 000000006A04: D3B240CE 18039D10
	v_pk_add_f32 v[206:207], v[18:19], v[206:207]              // 000000006A0C: D3B240CE 18039D12
	v_add_f32_e32 v206, v207, v206                             // 000000006A14: 039D9DCF
	v_mul_f32_e32 v208, v202, v208                             // 000000006A18: 0BA1A1CA
	v_mov_b32_e32 v209, 0                                      // 000000006A1C: 7FA20280
	v_pk_add_f32 v[208:209], v[20:21], v[208:209]              // 000000006A20: D3B240D0 1803A114
	v_pk_add_f32 v[208:209], v[22:23], v[208:209]              // 000000006A28: D3B240D0 1803A116
	v_pk_add_f32 v[208:209], v[24:25], v[208:209]              // 000000006A30: D3B240D0 1803A118
	v_pk_add_f32 v[208:209], v[26:27], v[208:209]              // 000000006A38: D3B240D0 1803A11A
	v_pk_add_f32 v[208:209], v[28:29], v[208:209]              // 000000006A40: D3B240D0 1803A11C
	v_pk_add_f32 v[208:209], v[30:31], v[208:209]              // 000000006A48: D3B240D0 1803A11E
	v_pk_add_f32 v[208:209], v[32:33], v[208:209]              // 000000006A50: D3B240D0 1803A120
	v_pk_add_f32 v[208:209], v[34:35], v[208:209]              // 000000006A58: D3B240D0 1803A122
	v_add_f32_e32 v208, v209, v208                             // 000000006A60: 03A1A1D1
	v_mul_f32_e32 v210, v204, v210                             // 000000006A64: 0BA5A5CC
	v_mov_b32_e32 v211, 0                                      // 000000006A68: 7FA60280
	v_pk_add_f32 v[210:211], v[36:37], v[210:211]              // 000000006A6C: D3B240D2 1803A524
	v_pk_add_f32 v[210:211], v[38:39], v[210:211]              // 000000006A74: D3B240D2 1803A526
	v_pk_add_f32 v[210:211], v[40:41], v[210:211]              // 000000006A7C: D3B240D2 1803A528
	v_pk_add_f32 v[210:211], v[42:43], v[210:211]              // 000000006A84: D3B240D2 1803A52A
	v_add_f32_e32 v210, v211, v210                             // 000000006A8C: 03A5A5D3
	s_waitcnt lgkmcnt(0)                                       // 000000006A90: BF8CC07F
	v_sub_f32_e32 v188, v188, v194                             // 000000006A94: 057985BC
	v_sub_f32_e32 v189, v189, v195                             // 000000006A98: 057B87BD
	v_sub_f32_e32 v190, v190, v196                             // 000000006A9C: 057D89BE
	v_mul_f32_e32 v188, s46, v188                              // 000000006AA0: 0B79782E
	v_mul_f32_e32 v189, s46, v189                              // 000000006AA4: 0B7B7A2E
	v_mul_f32_e32 v190, s46, v190                              // 000000006AA8: 0B7D7C2E
	v_exp_f32_e32 v188, v188                                   // 000000006AAC: 7F7841BC
	v_exp_f32_e32 v189, v189                                   // 000000006AB0: 7F7A41BD
	v_exp_f32_e32 v190, v190                                   // 000000006AB4: 7F7C41BE
	v_mul_f32_e32 v188, v157, v188                             // 000000006AB8: 0B79799D
	v_mul_f32_e32 v189, v157, v189                             // 000000006ABC: 0B7B7B9D
	v_mul_f32_e32 v190, v157, v190                             // 000000006AC0: 0B7D7D9D
	v_add_f32_e32 v188, 0x3089705f, v188                       // 000000006AC4: 037978FF 3089705F
	v_add_f32_e32 v189, 0x3089705f, v189                       // 000000006ACC: 037B7AFF 3089705F
	v_add_f32_e32 v190, 0x3089705f, v190                       // 000000006AD4: 037D7CFF 3089705F
	v_rcp_f32_e32 v188, v188                                   // 000000006ADC: 7F7845BC
	v_rcp_f32_e32 v189, v189                                   // 000000006AE0: 7F7A45BD
	v_rcp_f32_e32 v190, v190                                   // 000000006AE4: 7F7C45BE
	v_mul_f32_e32 v188, 0x43700000, v188                       // 000000006AE8: 0B7978FF 43700000
	v_mul_f32_e32 v189, 0x43700000, v189                       // 000000006AF0: 0B7B7AFF 43700000
	v_mul_f32_e32 v190, 0x43700000, v190                       // 000000006AF8: 0B7D7CFF 43700000
	v_mov_b32_e32 v192, v190                                   // 000000006B00: 7F8003BE
	v_mov_b32_e32 v193, v190                                   // 000000006B04: 7F8203BE
	v_mov_b32_e32 v190, v189                                   // 000000006B08: 7F7C03BD
	v_mov_b32_e32 v191, v189                                   // 000000006B0C: 7F7E03BD
	v_mov_b32_e32 v189, v188                                   // 000000006B10: 7F7A03BC
	v_pk_mul_f32 v[4:5], v[188:189], v[52:53]                  // 000000006B14: D3B14004 180269BC
	v_pk_mul_f32 v[6:7], v[188:189], v[54:55]                  // 000000006B1C: D3B14006 18026DBC
	v_pk_mul_f32 v[8:9], v[188:189], v[56:57]                  // 000000006B24: D3B14008 180271BC
	v_pk_mul_f32 v[10:11], v[188:189], v[58:59]                // 000000006B2C: D3B1400A 180275BC
	v_pk_mul_f32 v[12:13], v[188:189], v[60:61]                // 000000006B34: D3B1400C 180279BC
	v_pk_mul_f32 v[14:15], v[188:189], v[62:63]                // 000000006B3C: D3B1400E 18027DBC
	v_pk_mul_f32 v[16:17], v[188:189], v[64:65]                // 000000006B44: D3B14010 180281BC
	v_pk_mul_f32 v[18:19], v[188:189], v[66:67]                // 000000006B4C: D3B14012 180285BC
	v_pk_mul_f32 v[20:21], v[190:191], v[68:69]                // 000000006B54: D3B14014 180289BE
	v_pk_mul_f32 v[22:23], v[190:191], v[70:71]                // 000000006B5C: D3B14016 18028DBE
	v_pk_mul_f32 v[24:25], v[190:191], v[72:73]                // 000000006B64: D3B14018 180291BE
	v_pk_mul_f32 v[26:27], v[190:191], v[74:75]                // 000000006B6C: D3B1401A 180295BE
	v_pk_mul_f32 v[28:29], v[190:191], v[76:77]                // 000000006B74: D3B1401C 180299BE
	v_pk_mul_f32 v[30:31], v[190:191], v[78:79]                // 000000006B7C: D3B1401E 18029DBE
	v_pk_mul_f32 v[32:33], v[190:191], v[80:81]                // 000000006B84: D3B14020 1802A1BE
	v_pk_mul_f32 v[34:35], v[190:191], v[82:83]                // 000000006B8C: D3B14022 1802A5BE
	v_pk_mul_f32 v[36:37], v[192:193], v[84:85]                // 000000006B94: D3B14024 1802A9C0
	v_pk_mul_f32 v[38:39], v[192:193], v[86:87]                // 000000006B9C: D3B14026 1802ADC0
	v_pk_mul_f32 v[40:41], v[192:193], v[88:89]                // 000000006BA4: D3B14028 1802B1C0
	v_pk_mul_f32 v[42:43], v[192:193], v[90:91]                // 000000006BAC: D3B1402A 1802B5C0
	v_cvt_pk_fp8_f32 v4, v4, v5                                // 000000006BB4: D2A20004 00020B04
	v_cvt_pk_fp8_f32 v4, v6, v7 op_sel:[0,0,1]                 // 000000006BBC: D2A24004 00020F06
	v_cvt_pk_fp8_f32 v5, v8, v9                                // 000000006BC4: D2A20005 00021308
	v_cvt_pk_fp8_f32 v5, v10, v11 op_sel:[0,0,1]               // 000000006BCC: D2A24005 0002170A
	v_cvt_pk_fp8_f32 v6, v12, v13                              // 000000006BD4: D2A20006 00021B0C
	v_cvt_pk_fp8_f32 v6, v14, v15 op_sel:[0,0,1]               // 000000006BDC: D2A24006 00021F0E
	v_cvt_pk_fp8_f32 v7, v16, v17                              // 000000006BE4: D2A20007 00022310
	v_cvt_pk_fp8_f32 v7, v18, v19 op_sel:[0,0,1]               // 000000006BEC: D2A24007 00022712
	v_cvt_pk_fp8_f32 v8, v20, v21                              // 000000006BF4: D2A20008 00022B14
	v_cvt_pk_fp8_f32 v8, v22, v23 op_sel:[0,0,1]               // 000000006BFC: D2A24008 00022F16
	v_cvt_pk_fp8_f32 v9, v24, v25                              // 000000006C04: D2A20009 00023318
	v_cvt_pk_fp8_f32 v9, v26, v27 op_sel:[0,0,1]               // 000000006C0C: D2A24009 0002371A
	v_cvt_pk_fp8_f32 v10, v28, v29                             // 000000006C14: D2A2000A 00023B1C
	v_cvt_pk_fp8_f32 v10, v30, v31 op_sel:[0,0,1]              // 000000006C1C: D2A2400A 00023F1E
	v_cvt_pk_fp8_f32 v11, v32, v33                             // 000000006C24: D2A2000B 00024320
	v_cvt_pk_fp8_f32 v11, v34, v35 op_sel:[0,0,1]              // 000000006C2C: D2A2400B 00024722
	v_cvt_pk_fp8_f32 v12, v36, v37                             // 000000006C34: D2A2000C 00024B24
	v_cvt_pk_fp8_f32 v12, v38, v39 op_sel:[0,0,1]              // 000000006C3C: D2A2400C 00024F26
	v_cvt_pk_fp8_f32 v13, v40, v41                             // 000000006C44: D2A2000D 00025328
	v_cvt_pk_fp8_f32 v13, v42, v43 op_sel:[0,0,1]              // 000000006C4C: D2A2400D 0002572A
	v_mov_b32_dpp v14, v12 row_shl:8 row_mask:0xf bank_mask:0xf bound_ctrl:1// 000000006C54: 7E1C02FA FF09080C
	v_and_b32_e32 v12, v12, v224                               // 000000006C5C: 2619C10C
	v_mov_b32_dpp v15, v13 row_shl:8 row_mask:0xf bank_mask:0xf bound_ctrl:1// 000000006C60: 7E1E02FA FF09080D
	v_and_b32_e32 v13, v13, v224                               // 000000006C68: 261BC10D
	ds_write_b32 v254, v4 offset:8192                          // 000000006C6C: D81A2000 000004FE
	ds_write_b32 v254, v5 offset:9216                          // 000000006C74: D81A2400 000005FE
	ds_write_b32 v254, v6 offset:10240                         // 000000006C7C: D81A2800 000006FE
	ds_write_b32 v254, v7 offset:11264                         // 000000006C84: D81A2C00 000007FE
	ds_write_b32 v254, v8 offset:12288                         // 000000006C8C: D81A3000 000008FE
	ds_write_b32 v254, v9 offset:13312                         // 000000006C94: D81A3400 000009FE
	ds_write_b32 v254, v10 offset:14336                        // 000000006C9C: D81A3800 00000AFE
	ds_write_b32 v254, v11 offset:15360                        // 000000006CA4: D81A3C00 00000BFE
	ds_write_b32 v254, v12 offset:16384                        // 000000006CAC: D81A4000 00000CFE
	ds_write_b32 v254, v13 offset:17408                        // 000000006CB4: D81A4400 00000DFE
	ds_write_b32 v254, v14 offset:18432                        // 000000006CBC: D81A4800 00000EFE
	ds_write_b32 v254, v15 offset:19456                        // 000000006CC4: D81A4C00 00000FFE
	v_rcp_f32_e32 v158, v188                                   // 000000006CCC: 7F3C45BC
	v_rcp_f32_e32 v160, v190                                   // 000000006CD0: 7F4045BE
	v_rcp_f32_e32 v162, v192                                   // 000000006CD4: 7F4445C0
	v_mov_b32_e32 v159, v158                                   // 000000006CD8: 7F3E039E
	v_mov_b32_e32 v161, v160                                   // 000000006CDC: 7F4203A0
	v_mov_b32_e32 v163, v162                                   // 000000006CE0: 7F4603A2
	v_pk_add_f32 v[124:125], v[124:125], v[100:101]            // 000000006CE4: D3B2407C 1802C97C
	v_pk_add_f32 v[126:127], v[126:127], v[102:103]            // 000000006CEC: D3B2407E 1802CD7E
	v_pk_add_f32 v[128:129], v[128:129], v[104:105]            // 000000006CF4: D3B24080 1802D180
	v_pk_add_f32 v[130:131], v[130:131], v[106:107]            // 000000006CFC: D3B24082 1802D582
	v_pk_add_f32 v[132:133], v[132:133], v[108:109]            // 000000006D04: D3B24084 1802D984
	v_pk_add_f32 v[134:135], v[134:135], v[110:111]            // 000000006D0C: D3B24086 1802DD86
	v_pk_add_f32 v[136:137], v[136:137], v[112:113]            // 000000006D14: D3B24088 1802E188
	v_pk_add_f32 v[138:139], v[138:139], v[114:115]            // 000000006D1C: D3B2408A 1802E58A
	v_pk_add_f32 v[140:141], v[140:141], v[116:117]            // 000000006D24: D3B2408C 1802E98C
	v_pk_add_f32 v[142:143], v[142:143], v[118:119]            // 000000006D2C: D3B2408E 1802ED8E
	v_pk_add_f32 v[144:145], v[144:145], v[120:121]            // 000000006D34: D3B24090 1802F190
	v_pk_add_f32 v[146:147], v[146:147], v[122:123]            // 000000006D3C: D3B24092 1802F592
	s_waitcnt lgkmcnt(0)                                       // 000000006D44: BF8CC07F
	s_barrier                                                  // 000000006D48: BF8A0000
	ds_read_b128 v[4:7], v255 offset:8192                      // 000000006D4C: D9FE2000 040000FF
	ds_read_b128 v[8:11], v255 offset:9216                     // 000000006D54: D9FE2400 080000FF
	ds_read_b128 v[12:15], v255 offset:10240                   // 000000006D5C: D9FE2800 0C0000FF
	ds_read_b128 v[16:19], v255 offset:11264                   // 000000006D64: D9FE2C00 100000FF
	ds_read_b128 v[20:23], v255 offset:12288                   // 000000006D6C: D9FE3000 140000FF
	ds_read_b128 v[24:27], v255 offset:13312                   // 000000006D74: D9FE3400 180000FF
	ds_read_b128 v[28:31], v255 offset:14336                   // 000000006D7C: D9FE3800 1C0000FF
	ds_read_b128 v[32:35], v255 offset:15360                   // 000000006D84: D9FE3C00 200000FF
	ds_read_b128 v[36:39], v255 offset:16384                   // 000000006D8C: D9FE4000 240000FF
	ds_read_b128 v[40:43], v255 offset:17408                   // 000000006D94: D9FE4400 280000FF
	ds_read_b128 v[44:47], v255 offset:18432                   // 000000006D9C: D9FE4800 2C0000FF
	ds_read_b128 v[48:51], v255 offset:19456                   // 000000006DA4: D9FE4C00 300000FF
	s_waitcnt vmcnt(10)                                        // 000000006DAC: BF8C0F7A
	s_waitcnt lgkmcnt(11)                                      // 000000006DB0: BF8CCB7F
	v_mfma_f32_16x16x32_fp8_fp8 v[100:103], a[120:121], v[4:5], 0// 000000006DB4: D3F30064 0A020978
	v_mfma_f32_16x16x32_fp8_fp8 v[104:107], a[136:137], v[4:5], 0// 000000006DBC: D3F30068 0A020988
	v_mfma_f32_16x16x32_fp8_fp8 v[100:103], a[122:123], v[6:7], v[100:103]// 000000006DC4: D3F30064 0D920D7A
	buffer_load_dwordx4 a[88:91], v234, s[16:19], 0 offen      // 000000006DCC: E05C1000 808458EA
	v_mfma_f32_16x16x32_fp8_fp8 v[104:107], a[138:139], v[6:7], v[104:107]// 000000006DD4: D3F30068 0DA20D8A
	s_waitcnt lgkmcnt(10)                                      // 000000006DDC: BF8CCA7F
	v_mfma_f32_16x16x32_fp8_fp8 v[100:103], a[124:125], v[8:9], v[100:103]// 000000006DE0: D3F30064 0D92117C
	v_mfma_f32_16x16x32_fp8_fp8 v[104:107], a[140:141], v[8:9], v[104:107]// 000000006DE8: D3F30068 0DA2118C
	v_mfma_f32_16x16x32_fp8_fp8 v[100:103], a[126:127], v[10:11], v[100:103]// 000000006DF0: D3F30064 0D92157E
	buffer_load_dwordx4 a[92:95], v235, s[16:19], 0 offen      // 000000006DF8: E05C1000 80845CEB
	v_mfma_f32_16x16x32_fp8_fp8 v[104:107], a[142:143], v[10:11], v[104:107]// 000000006E00: D3F30068 0DA2158E
	s_waitcnt lgkmcnt(9)                                       // 000000006E08: BF8CC97F
	v_mfma_f32_16x16x32_fp8_fp8 v[100:103], a[128:129], v[12:13], v[100:103]// 000000006E0C: D3F30064 0D921980
	v_mfma_f32_16x16x32_fp8_fp8 v[104:107], a[144:145], v[12:13], v[104:107]// 000000006E14: D3F30068 0DA21990
	v_mfma_f32_16x16x32_fp8_fp8 v[100:103], a[130:131], v[14:15], v[100:103]// 000000006E1C: D3F30064 0D921D82
	buffer_load_dwordx4 a[96:99], v236, s[16:19], 0 offen      // 000000006E24: E05C1000 808460EC
	v_mfma_f32_16x16x32_fp8_fp8 v[104:107], a[146:147], v[14:15], v[104:107]// 000000006E2C: D3F30068 0DA21D92
	s_waitcnt lgkmcnt(8)                                       // 000000006E34: BF8CC87F
	v_mfma_f32_16x16x32_fp8_fp8 v[100:103], a[132:133], v[16:17], v[100:103]// 000000006E38: D3F30064 0D922184
	v_mfma_f32_16x16x32_fp8_fp8 v[104:107], a[148:149], v[16:17], v[104:107]// 000000006E40: D3F30068 0DA22194
	v_mfma_f32_16x16x32_fp8_fp8 v[100:103], a[134:135], v[18:19], v[100:103]// 000000006E48: D3F30064 0D922586
	buffer_load_dwordx4 a[100:103], v237, s[16:19], 0 offen    // 000000006E50: E05C1000 808464ED
	v_mfma_f32_16x16x32_fp8_fp8 v[104:107], a[150:151], v[18:19], v[104:107]// 000000006E58: D3F30068 0DA22596
	s_waitcnt lgkmcnt(7)                                       // 000000006E60: BF8CC77F
	v_mfma_f32_16x16x32_fp8_fp8 v[108:111], a[120:121], v[20:21], 0// 000000006E64: D3F3006C 0A022978
	v_mfma_f32_16x16x32_fp8_fp8 v[112:115], a[136:137], v[20:21], 0// 000000006E6C: D3F30070 0A022988
	v_mfma_f32_16x16x32_fp8_fp8 v[108:111], a[122:123], v[22:23], v[108:111]// 000000006E74: D3F3006C 0DB22D7A
	buffer_load_dwordx4 a[104:107], v234, s[16:19], 0 offen offset:1024// 000000006E7C: E05C1400 808468EA
	v_mfma_f32_16x16x32_fp8_fp8 v[112:115], a[138:139], v[22:23], v[112:115]// 000000006E84: D3F30070 0DC22D8A
	s_waitcnt lgkmcnt(6)                                       // 000000006E8C: BF8CC67F
	v_mfma_f32_16x16x32_fp8_fp8 v[108:111], a[124:125], v[24:25], v[108:111]// 000000006E90: D3F3006C 0DB2317C
	v_mfma_f32_16x16x32_fp8_fp8 v[112:115], a[140:141], v[24:25], v[112:115]// 000000006E98: D3F30070 0DC2318C
	v_mfma_f32_16x16x32_fp8_fp8 v[108:111], a[126:127], v[26:27], v[108:111]// 000000006EA0: D3F3006C 0DB2357E
	buffer_load_dwordx4 a[108:111], v235, s[16:19], 0 offen offset:1024// 000000006EA8: E05C1400 80846CEB
	v_mfma_f32_16x16x32_fp8_fp8 v[112:115], a[142:143], v[26:27], v[112:115]// 000000006EB0: D3F30070 0DC2358E
	s_waitcnt lgkmcnt(5)                                       // 000000006EB8: BF8CC57F
	v_mfma_f32_16x16x32_fp8_fp8 v[108:111], a[128:129], v[28:29], v[108:111]// 000000006EBC: D3F3006C 0DB23980
	v_mfma_f32_16x16x32_fp8_fp8 v[112:115], a[144:145], v[28:29], v[112:115]// 000000006EC4: D3F30070 0DC23990
	v_mfma_f32_16x16x32_fp8_fp8 v[108:111], a[130:131], v[30:31], v[108:111]// 000000006ECC: D3F3006C 0DB23D82
	buffer_load_dwordx4 a[112:115], v236, s[16:19], 0 offen offset:1024// 000000006ED4: E05C1400 808470EC
	v_mfma_f32_16x16x32_fp8_fp8 v[112:115], a[146:147], v[30:31], v[112:115]// 000000006EDC: D3F30070 0DC23D92
	s_waitcnt lgkmcnt(4)                                       // 000000006EE4: BF8CC47F
	v_mfma_f32_16x16x32_fp8_fp8 v[108:111], a[132:133], v[32:33], v[108:111]// 000000006EE8: D3F3006C 0DB24184
	v_mfma_f32_16x16x32_fp8_fp8 v[112:115], a[148:149], v[32:33], v[112:115]// 000000006EF0: D3F30070 0DC24194
	v_mfma_f32_16x16x32_fp8_fp8 v[108:111], a[134:135], v[34:35], v[108:111]// 000000006EF8: D3F3006C 0DB24586
	buffer_load_dwordx4 a[116:119], v237, s[16:19], 0 offen offset:1024// 000000006F00: E05C1400 808474ED
	v_mfma_f32_16x16x32_fp8_fp8 v[112:115], a[150:151], v[34:35], v[112:115]// 000000006F08: D3F30070 0DC24596
	s_waitcnt lgkmcnt(3)                                       // 000000006F10: BF8CC37F
	v_mfma_f32_16x16x32_fp8_fp8 v[116:119], a[120:121], v[36:37], 0// 000000006F14: D3F30074 0A024978
	v_mfma_f32_16x16x32_fp8_fp8 v[120:123], a[136:137], v[36:37], 0// 000000006F1C: D3F30078 0A024988
	v_mfma_f32_16x16x32_fp8_fp8 v[116:119], a[122:123], v[38:39], v[116:119]// 000000006F24: D3F30074 0DD24D7A
	v_mfma_f32_16x16x32_fp8_fp8 v[120:123], a[138:139], v[38:39], v[120:123]// 000000006F2C: D3F30078 0DE24D8A
	s_waitcnt lgkmcnt(2)                                       // 000000006F34: BF8CC27F
	v_mfma_f32_16x16x32_fp8_fp8 v[116:119], a[124:125], v[40:41], v[116:119]// 000000006F38: D3F30074 0DD2517C
	v_mfma_f32_16x16x32_fp8_fp8 v[120:123], a[140:141], v[40:41], v[120:123]// 000000006F40: D3F30078 0DE2518C
	v_mfma_f32_16x16x32_fp8_fp8 v[116:119], a[126:127], v[42:43], v[116:119]// 000000006F48: D3F30074 0DD2557E
	v_mfma_f32_16x16x32_fp8_fp8 v[120:123], a[142:143], v[42:43], v[120:123]// 000000006F50: D3F30078 0DE2558E
	s_waitcnt lgkmcnt(1)                                       // 000000006F58: BF8CC17F
	v_mfma_f32_16x16x32_fp8_fp8 v[116:119], a[128:129], v[44:45], v[116:119]// 000000006F5C: D3F30074 0DD25980
	v_mfma_f32_16x16x32_fp8_fp8 v[120:123], a[144:145], v[44:45], v[120:123]// 000000006F64: D3F30078 0DE25990
	v_mfma_f32_16x16x32_fp8_fp8 v[116:119], a[130:131], v[46:47], v[116:119]// 000000006F6C: D3F30074 0DD25D82
	v_mfma_f32_16x16x32_fp8_fp8 v[120:123], a[146:147], v[46:47], v[120:123]// 000000006F74: D3F30078 0DE25D92
	s_waitcnt lgkmcnt(0)                                       // 000000006F7C: BF8CC07F
	v_mfma_f32_16x16x32_fp8_fp8 v[116:119], a[132:133], v[48:49], v[116:119]// 000000006F80: D3F30074 0DD26184
	v_mfma_f32_16x16x32_fp8_fp8 v[120:123], a[148:149], v[48:49], v[120:123]// 000000006F88: D3F30078 0DE26194
	v_mfma_f32_16x16x32_fp8_fp8 v[116:119], a[134:135], v[50:51], v[116:119]// 000000006F90: D3F30074 0DD26586
	v_mfma_f32_16x16x32_fp8_fp8 v[120:123], a[150:151], v[50:51], v[120:123]// 000000006F98: D3F30078 0DE26596
	s_addk_i32 s64, 0x100                                      // 000000006FA0: B7400100
	s_branch label_0424                                        // 000000006FA4: BF82F1BA

0000000000006fa8 <label_126A>:
	s_cmp_lt_i32 s64, s63                                      // 000000006FA8: BF043F40
	s_cbranch_scc0 label_20B0                                  // 000000006FAC: BF840E44
	s_waitcnt vmcnt(10)                                        // 000000006FB0: BF8C0F7A
	v_mfma_f32_16x16x32_fp8_fp8 v[4:7], a[24:25], a[0:1], 0    // 000000006FB4: D3F30004 1A020118
	s_add_u32 s12, s86, s69                                    // 000000006FBC: 800C4556
	s_addc_u32 s13, s87, 0                                     // 000000006FC0: 820D8057
	v_mfma_f32_16x16x32_fp8_fp8 v[4:7], a[26:27], a[2:3], v[4:7]// 000000006FC4: D3F30004 1C12051A
	s_add_u32 s16, s88, s70                                    // 000000006FCC: 80104658
	s_addc_u32 s17, s89, 0                                     // 000000006FD0: 82118059
	v_mfma_f32_16x16x32_fp8_fp8 v[4:7], a[28:29], a[4:5], v[4:7]// 000000006FD4: D3F30004 1C12091C
	buffer_load_dwordx4 a[56:59], v232, s[12:15], 0 offen      // 000000006FDC: E05C1000 808338E8
	v_mfma_f32_16x16x32_fp8_fp8 v[4:7], a[30:31], a[6:7], v[4:7]// 000000006FE4: D3F30004 1C120D1E
	s_add_u32 s20, s90, s71                                    // 000000006FEC: 8014475A
	s_addc_u32 s21, s91, 0                                     // 000000006FF0: 8215805B
	v_mfma_f32_16x16x32_fp8_fp8 v[8:11], a[32:33], a[0:1], 0   // 000000006FF4: D3F30008 1A020120
	s_add_u32 s24, s92, s71                                    // 000000006FFC: 8018475C
	s_addc_u32 s25, s93, 0                                     // 000000007000: 8219805D
	v_mfma_f32_16x16x32_fp8_fp8 v[8:11], a[34:35], a[2:3], v[8:11]// 000000007004: D3F30008 1C220522
	s_add_u32 s69, s69, 0x1000                                 // 00000000700C: 8045FF45 00001000
	s_add_u32 s70, s70, 0x8000                                 // 000000007014: 8046FF46 00008000
	v_mfma_f32_16x16x32_fp8_fp8 v[8:11], a[36:37], a[4:5], v[8:11]// 00000000701C: D3F30008 1C220924
	buffer_load_dwordx4 a[60:63], v233, s[12:15], 0 offen      // 000000007024: E05C1000 80833CE9
	v_mfma_f32_16x16x32_fp8_fp8 v[8:11], a[38:39], a[6:7], v[8:11]// 00000000702C: D3F30008 1C220D26
	v_mfma_f32_16x16x32_fp8_fp8 v[12:15], a[40:41], a[0:1], 0  // 000000007034: D3F3000C 1A020128
	v_mfma_f32_16x16x32_fp8_fp8 v[12:15], a[42:43], a[2:3], v[12:15]// 00000000703C: D3F3000C 1C32052A
	v_mfma_f32_16x16x32_fp8_fp8 v[12:15], a[44:45], a[4:5], v[12:15]// 000000007044: D3F3000C 1C32092C
	buffer_load_dwordx4 a[64:67], v232, s[12:15], 0 offen offset:1024// 00000000704C: E05C1400 808340E8
	v_mfma_f32_16x16x32_fp8_fp8 v[12:15], a[46:47], a[6:7], v[12:15]// 000000007054: D3F3000C 1C320D2E
	v_mfma_f32_16x16x32_fp8_fp8 v[16:19], a[48:49], a[0:1], 0  // 00000000705C: D3F30010 1A020130
	v_mfma_f32_16x16x32_fp8_fp8 v[16:19], a[50:51], a[2:3], v[16:19]// 000000007064: D3F30010 1C420532
	v_mfma_f32_16x16x32_fp8_fp8 v[16:19], a[52:53], a[4:5], v[16:19]// 00000000706C: D3F30010 1C420934
	buffer_load_dwordx4 a[68:71], v233, s[12:15], 0 offen offset:1024// 000000007074: E05C1400 808344E9
	v_mfma_f32_16x16x32_fp8_fp8 v[16:19], a[54:55], a[6:7], v[16:19]// 00000000707C: D3F30010 1C420D36
	v_mfma_f32_16x16x32_fp8_fp8 v[20:23], a[24:25], a[8:9], 0  // 000000007084: D3F30014 1A021118
	v_mfma_f32_16x16x32_fp8_fp8 v[20:23], a[26:27], a[10:11], v[20:23]// 00000000708C: D3F30014 1C52151A
	v_mfma_f32_16x16x32_fp8_fp8 v[20:23], a[28:29], a[12:13], v[20:23]// 000000007094: D3F30014 1C52191C
	buffer_load_dwordx4 a[72:75], v232, s[12:15], 0 offen offset:2048// 00000000709C: E05C1800 808348E8
	v_mfma_f32_16x16x32_fp8_fp8 v[20:23], a[30:31], a[14:15], v[20:23]// 0000000070A4: D3F30014 1C521D1E
	v_mfma_f32_16x16x32_fp8_fp8 v[24:27], a[32:33], a[8:9], 0  // 0000000070AC: D3F30018 1A021120
	v_mfma_f32_16x16x32_fp8_fp8 v[24:27], a[34:35], a[10:11], v[24:27]// 0000000070B4: D3F30018 1C621522
	v_mfma_f32_16x16x32_fp8_fp8 v[24:27], a[36:37], a[12:13], v[24:27]// 0000000070BC: D3F30018 1C621924
	buffer_load_dwordx4 a[76:79], v233, s[12:15], 0 offen offset:2048// 0000000070C4: E05C1800 80834CE9
	v_mfma_f32_16x16x32_fp8_fp8 v[24:27], a[38:39], a[14:15], v[24:27]// 0000000070CC: D3F30018 1C621D26
	v_mfma_f32_16x16x32_fp8_fp8 v[28:31], a[40:41], a[8:9], 0  // 0000000070D4: D3F3001C 1A021128
	v_mfma_f32_16x16x32_fp8_fp8 v[28:31], a[42:43], a[10:11], v[28:31]// 0000000070DC: D3F3001C 1C72152A
	v_mfma_f32_16x16x32_fp8_fp8 v[28:31], a[44:45], a[12:13], v[28:31]// 0000000070E4: D3F3001C 1C72192C
	buffer_load_dwordx4 a[80:83], v232, s[12:15], 0 offen offset:3072// 0000000070EC: E05C1C00 808350E8
	v_mfma_f32_16x16x32_fp8_fp8 v[28:31], a[46:47], a[14:15], v[28:31]// 0000000070F4: D3F3001C 1C721D2E
	v_mfma_f32_16x16x32_fp8_fp8 v[32:35], a[48:49], a[8:9], 0  // 0000000070FC: D3F30020 1A021130
	v_mfma_f32_16x16x32_fp8_fp8 v[32:35], a[50:51], a[10:11], v[32:35]// 000000007104: D3F30020 1C821532
	v_mfma_f32_16x16x32_fp8_fp8 v[32:35], a[52:53], a[12:13], v[32:35]// 00000000710C: D3F30020 1C821934
	buffer_load_dwordx4 a[84:87], v233, s[12:15], 0 offen offset:3072// 000000007114: E05C1C00 808354E9
	v_mfma_f32_16x16x32_fp8_fp8 v[32:35], a[54:55], a[14:15], v[32:35]// 00000000711C: D3F30020 1C821D36
	v_mfma_f32_16x16x32_fp8_fp8 v[36:39], a[24:25], a[16:17], 0// 000000007124: D3F30024 1A022118
	v_mfma_f32_16x16x32_fp8_fp8 v[36:39], a[26:27], a[18:19], v[36:39]// 00000000712C: D3F30024 1C92251A
	v_mfma_f32_16x16x32_fp8_fp8 v[36:39], a[28:29], a[20:21], v[36:39]// 000000007134: D3F30024 1C92291C
	v_mfma_f32_16x16x32_fp8_fp8 v[36:39], a[30:31], a[22:23], v[36:39]// 00000000713C: D3F30024 1C922D1E
	v_mfma_f32_16x16x32_fp8_fp8 v[40:43], a[32:33], a[16:17], 0// 000000007144: D3F30028 1A022120
	v_mfma_f32_16x16x32_fp8_fp8 v[40:43], a[34:35], a[18:19], v[40:43]// 00000000714C: D3F30028 1CA22522
	v_mfma_f32_16x16x32_fp8_fp8 v[40:43], a[36:37], a[20:21], v[40:43]// 000000007154: D3F30028 1CA22924
	v_mfma_f32_16x16x32_fp8_fp8 v[40:43], a[38:39], a[22:23], v[40:43]// 00000000715C: D3F30028 1CA22D26
	v_mfma_f32_16x16x32_fp8_fp8 v[44:47], a[40:41], a[16:17], 0// 000000007164: D3F3002C 1A022128
	v_mfma_f32_16x16x32_fp8_fp8 v[44:47], a[42:43], a[18:19], v[44:47]// 00000000716C: D3F3002C 1CB2252A
	v_mfma_f32_16x16x32_fp8_fp8 v[44:47], a[44:45], a[20:21], v[44:47]// 000000007174: D3F3002C 1CB2292C
	v_mfma_f32_16x16x32_fp8_fp8 v[44:47], a[46:47], a[22:23], v[44:47]// 00000000717C: D3F3002C 1CB22D2E
	v_mfma_f32_16x16x32_fp8_fp8 v[48:51], a[48:49], a[16:17], 0// 000000007184: D3F30030 1A022130
	v_mfma_f32_16x16x32_fp8_fp8 v[48:51], a[50:51], a[18:19], v[48:51]// 00000000718C: D3F30030 1CC22532
	v_mfma_f32_16x16x32_fp8_fp8 v[48:51], a[52:53], a[20:21], v[48:51]// 000000007194: D3F30030 1CC22934
	v_mfma_f32_16x16x32_fp8_fp8 v[48:51], a[54:55], a[22:23], v[48:51]// 00000000719C: D3F30030 1CC22D36
	s_waitcnt vmcnt(16)                                        // 0000000071A4: BF8C4F70
	v_or_b32_dpp v36, v44, v36 row_shr:8 row_mask:0xf bank_mask:0xf bound_ctrl:1// 0000000071A8: 284848FA FF09182C
	v_or_b32_dpp v37, v45, v37 row_shr:8 row_mask:0xf bank_mask:0xf bound_ctrl:1// 0000000071B0: 284A4AFA FF09182D
	v_or_b32_dpp v38, v46, v38 row_shr:8 row_mask:0xf bank_mask:0xf bound_ctrl:1// 0000000071B8: 284C4CFA FF09182E
	v_or_b32_dpp v39, v47, v39 row_shr:8 row_mask:0xf bank_mask:0xf bound_ctrl:1// 0000000071C0: 284E4EFA FF09182F
	v_or_b32_dpp v40, v48, v40 row_shr:8 row_mask:0xf bank_mask:0xf bound_ctrl:1// 0000000071C8: 285050FA FF091830
	v_or_b32_dpp v41, v49, v41 row_shr:8 row_mask:0xf bank_mask:0xf bound_ctrl:1// 0000000071D0: 285252FA FF091831
	v_or_b32_dpp v42, v50, v42 row_shr:8 row_mask:0xf bank_mask:0xf bound_ctrl:1// 0000000071D8: 285454FA FF091832
	v_or_b32_dpp v43, v51, v43 row_shr:8 row_mask:0xf bank_mask:0xf bound_ctrl:1// 0000000071E0: 285656FA FF091833
	v_pk_mul_f32 v[4:5], v[148:149], v[4:5]                    // 0000000071E8: D3B14004 18020994
	v_pk_mul_f32 v[6:7], v[148:149], v[6:7]                    // 0000000071F0: D3B14006 18020D94
	v_pk_mul_f32 v[8:9], v[148:149], v[8:9]                    // 0000000071F8: D3B14008 18021194
	v_pk_mul_f32 v[10:11], v[148:149], v[10:11]                // 000000007200: D3B1400A 18021594
	v_pk_mul_f32 v[12:13], v[148:149], v[12:13]                // 000000007208: D3B1400C 18021994
	v_pk_mul_f32 v[14:15], v[148:149], v[14:15]                // 000000007210: D3B1400E 18021D94
	v_pk_mul_f32 v[16:17], v[148:149], v[16:17]                // 000000007218: D3B14010 18022194
	v_pk_mul_f32 v[18:19], v[148:149], v[18:19]                // 000000007220: D3B14012 18022594
	v_mul_f32_e32 v4, v154, v4                                 // 000000007228: 0A08099A
	v_mul_f32_e32 v5, v154, v5                                 // 00000000722C: 0A0A0B9A
	v_mul_f32_e32 v6, v154, v6                                 // 000000007230: 0A0C0D9A
	v_mul_f32_e32 v7, v154, v7                                 // 000000007234: 0A0E0F9A
	v_mul_f32_e32 v8, v154, v8                                 // 000000007238: 0A10119A
	v_mul_f32_e32 v9, v154, v9                                 // 00000000723C: 0A12139A
	v_mul_f32_e32 v10, v154, v10                               // 000000007240: 0A14159A
	v_mul_f32_e32 v11, v154, v11                               // 000000007244: 0A16179A
	v_mul_f32_e32 v12, v154, v12                               // 000000007248: 0A18199A
	v_mul_f32_e32 v13, v154, v13                               // 00000000724C: 0A1A1B9A
	v_mul_f32_e32 v14, v154, v14                               // 000000007250: 0A1C1D9A
	v_mul_f32_e32 v15, v154, v15                               // 000000007254: 0A1E1F9A
	v_mul_f32_e32 v16, v154, v16                               // 000000007258: 0A20219A
	v_mul_f32_e32 v17, v154, v17                               // 00000000725C: 0A22239A
	v_mul_f32_e32 v18, v154, v18                               // 000000007260: 0A24259A
	v_mul_f32_e32 v19, v154, v19                               // 000000007264: 0A26279A
	v_pk_mul_f32 v[20:21], v[150:151], v[20:21]                // 000000007268: D3B14014 18022996
	v_pk_mul_f32 v[22:23], v[150:151], v[22:23]                // 000000007270: D3B14016 18022D96
	v_pk_mul_f32 v[24:25], v[150:151], v[24:25]                // 000000007278: D3B14018 18023196
	v_pk_mul_f32 v[26:27], v[150:151], v[26:27]                // 000000007280: D3B1401A 18023596
	v_pk_mul_f32 v[28:29], v[150:151], v[28:29]                // 000000007288: D3B1401C 18023996
	v_pk_mul_f32 v[30:31], v[150:151], v[30:31]                // 000000007290: D3B1401E 18023D96
	v_pk_mul_f32 v[32:33], v[150:151], v[32:33]                // 000000007298: D3B14020 18024196
	v_pk_mul_f32 v[34:35], v[150:151], v[34:35]                // 0000000072A0: D3B14022 18024596
	v_mul_f32_e32 v20, v154, v20                               // 0000000072A8: 0A28299A
	v_mul_f32_e32 v21, v154, v21                               // 0000000072AC: 0A2A2B9A
	v_mul_f32_e32 v22, v154, v22                               // 0000000072B0: 0A2C2D9A
	v_mul_f32_e32 v23, v154, v23                               // 0000000072B4: 0A2E2F9A
	v_mul_f32_e32 v24, v154, v24                               // 0000000072B8: 0A30319A
	v_mul_f32_e32 v25, v154, v25                               // 0000000072BC: 0A32339A
	v_mul_f32_e32 v26, v154, v26                               // 0000000072C0: 0A34359A
	v_mul_f32_e32 v27, v154, v27                               // 0000000072C4: 0A36379A
	v_mul_f32_e32 v28, v154, v28                               // 0000000072C8: 0A38399A
	v_mul_f32_e32 v29, v154, v29                               // 0000000072CC: 0A3A3B9A
	v_mul_f32_e32 v30, v154, v30                               // 0000000072D0: 0A3C3D9A
	v_mul_f32_e32 v31, v154, v31                               // 0000000072D4: 0A3E3F9A
	v_mul_f32_e32 v32, v154, v32                               // 0000000072D8: 0A40419A
	v_mul_f32_e32 v33, v154, v33                               // 0000000072DC: 0A42439A
	v_mul_f32_e32 v34, v154, v34                               // 0000000072E0: 0A44459A
	v_mul_f32_e32 v35, v154, v35                               // 0000000072E4: 0A46479A
	v_pk_mul_f32 v[36:37], v[152:153], v[36:37]                // 0000000072E8: D3B14024 18024998
	v_pk_mul_f32 v[38:39], v[152:153], v[38:39]                // 0000000072F0: D3B14026 18024D98
	v_pk_mul_f32 v[40:41], v[152:153], v[40:41]                // 0000000072F8: D3B14028 18025198
	v_pk_mul_f32 v[42:43], v[152:153], v[42:43]                // 000000007300: D3B1402A 18025598
	v_mul_f32_e32 v36, v154, v36                               // 000000007308: 0A48499A
	v_mul_f32_e32 v37, v154, v37                               // 00000000730C: 0A4A4B9A
	v_mul_f32_e32 v38, v154, v38                               // 000000007310: 0A4C4D9A
	v_mul_f32_e32 v39, v154, v39                               // 000000007314: 0A4E4F9A
	v_mul_f32_e32 v40, v154, v40                               // 000000007318: 0A50519A
	v_mul_f32_e32 v41, v154, v41                               // 00000000731C: 0A52539A
	v_mul_f32_e32 v42, v154, v42                               // 000000007320: 0A54559A
	v_mul_f32_e32 v43, v154, v43                               // 000000007324: 0A56579A
	v_mov_b32_e32 v190, v36                                    // 000000007328: 7F7C0324
	v_max3_f32 v190, v36, v37, v190                            // 00000000732C: D1D300BE 06FA4B24
	v_max3_f32 v190, v38, v39, v190                            // 000000007334: D1D300BE 06FA4F26
	v_max3_f32 v190, v40, v41, v190                            // 00000000733C: D1D300BE 06FA5328
	v_max3_f32 v190, v42, v43, v190                            // 000000007344: D1D300BE 06FA572A
	v_mov_b32_e32 v189, v20                                    // 00000000734C: 7F7A0314
	v_max3_f32 v189, v20, v21, v189                            // 000000007350: D1D300BD 06F62B14
	v_max3_f32 v189, v22, v23, v189                            // 000000007358: D1D300BD 06F62F16
	v_max3_f32 v189, v24, v25, v189                            // 000000007360: D1D300BD 06F63318
	v_max3_f32 v189, v26, v27, v189                            // 000000007368: D1D300BD 06F6371A
	v_max3_f32 v189, v28, v29, v189                            // 000000007370: D1D300BD 06F63B1C
	v_max3_f32 v189, v30, v31, v189                            // 000000007378: D1D300BD 06F63F1E
	v_max3_f32 v189, v32, v33, v189                            // 000000007380: D1D300BD 06F64320
	v_max3_f32 v189, v34, v35, v189                            // 000000007388: D1D300BD 06F64722
	v_mov_b32_e32 v188, v4                                     // 000000007390: 7F780304
	v_max3_f32 v188, v4, v5, v188                              // 000000007394: D1D300BC 06F20B04
	v_max3_f32 v188, v6, v7, v188                              // 00000000739C: D1D300BC 06F20F06
	v_max3_f32 v188, v8, v9, v188                              // 0000000073A4: D1D300BC 06F21308
	v_max3_f32 v188, v10, v11, v188                            // 0000000073AC: D1D300BC 06F2170A
	v_max3_f32 v188, v12, v13, v188                            // 0000000073B4: D1D300BC 06F21B0C
	v_max3_f32 v188, v14, v15, v188                            // 0000000073BC: D1D300BC 06F21F0E
	v_max3_f32 v188, v16, v17, v188                            // 0000000073C4: D1D300BC 06F22310
	v_max3_f32 v188, v18, v19, v188                            // 0000000073CC: D1D300BC 06F22712
	v_max_f32_dpp v190, v190, v190 row_ror:8 row_mask:0xf bank_mask:0xf// 0000000073D4: 177D7CFA FF0128BE
	v_pk_mul_f32 v[124:125], v[200:201], v[124:125]            // 0000000073DC: D3B1407C 1802F9C8
	v_pk_mul_f32 v[126:127], v[200:201], v[126:127]            // 0000000073E4: D3B1407E 1802FDC8
	v_pk_mul_f32 v[128:129], v[200:201], v[128:129]            // 0000000073EC: D3B14080 180301C8
	v_pk_mul_f32 v[130:131], v[200:201], v[130:131]            // 0000000073F4: D3B14082 180305C8
	v_pk_mul_f32 v[132:133], v[202:203], v[132:133]            // 0000000073FC: D3B14084 180309CA
	v_pk_mul_f32 v[134:135], v[202:203], v[134:135]            // 000000007404: D3B14086 18030DCA
	v_pk_mul_f32 v[136:137], v[202:203], v[136:137]            // 00000000740C: D3B14088 180311CA
	v_pk_mul_f32 v[138:139], v[202:203], v[138:139]            // 000000007414: D3B1408A 180315CA
	v_pk_mul_f32 v[140:141], v[204:205], v[140:141]            // 00000000741C: D3B1408C 180319CC
	v_pk_mul_f32 v[142:143], v[204:205], v[142:143]            // 000000007424: D3B1408E 18031DCC
	v_pk_mul_f32 v[144:145], v[204:205], v[144:145]            // 00000000742C: D3B14090 180321CC
	v_pk_mul_f32 v[146:147], v[204:205], v[146:147]            // 000000007434: D3B14092 180325CC
	ds_bpermute_b32 v172, v212, v188                           // 00000000743C: D87E0000 AC00BCD4
	ds_bpermute_b32 v173, v213, v188                           // 000000007444: D87E0000 AD00BCD5
	ds_bpermute_b32 v174, v214, v188                           // 00000000744C: D87E0000 AE00BCD6
	ds_bpermute_b32 v175, v212, v189                           // 000000007454: D87E0000 AF00BDD4
	ds_bpermute_b32 v176, v213, v189                           // 00000000745C: D87E0000 B000BDD5
	ds_bpermute_b32 v177, v214, v189                           // 000000007464: D87E0000 B100BDD6
	ds_bpermute_b32 v178, v212, v190                           // 00000000746C: D87E0000 B200BED4
	ds_bpermute_b32 v179, v213, v190                           // 000000007474: D87E0000 B300BED5
	ds_bpermute_b32 v180, v214, v190                           // 00000000747C: D87E0000 B400BED6
	s_waitcnt lgkmcnt(6)                                       // 000000007484: BF8CC67F
	v_max3_f32 v188, v172, v173, v188                          // 000000007488: D1D300BC 06F35BAC
	v_max_f32_e32 v188, v174, v188                             // 000000007490: 177979AE
	s_waitcnt lgkmcnt(3)                                       // 000000007494: BF8CC37F
	v_max3_f32 v189, v175, v176, v189                          // 000000007498: D1D300BD 06F761AF
	v_max_f32_e32 v189, v177, v189                             // 0000000074A0: 177B7BB1
	s_waitcnt lgkmcnt(0)                                       // 0000000074A4: BF8CC07F
	v_max3_f32 v190, v178, v179, v190                          // 0000000074A8: D1D300BE 06FB67B2
	v_max_f32_e32 v190, v180, v190                             // 0000000074B0: 177D7DB4
	ds_write_b128 v252, v[188:191]                             // 0000000074B4: D9BE0000 0000BCFC
	s_waitcnt lgkmcnt(0)                                       // 0000000074BC: BF8CC07F
	s_barrier                                                  // 0000000074C0: BF8A0000
	v_pk_mul_f32 v[100:101], v[158:159], v[100:101]            // 0000000074C4: D3B14064 1802C99E
	v_pk_mul_f32 v[102:103], v[158:159], v[102:103]            // 0000000074CC: D3B14066 1802CD9E
	v_pk_mul_f32 v[104:105], v[158:159], v[104:105]            // 0000000074D4: D3B14068 1802D19E
	v_pk_mul_f32 v[106:107], v[158:159], v[106:107]            // 0000000074DC: D3B1406A 1802D59E
	v_pk_mul_f32 v[108:109], v[160:161], v[108:109]            // 0000000074E4: D3B1406C 1802D9A0
	v_pk_mul_f32 v[110:111], v[160:161], v[110:111]            // 0000000074EC: D3B1406E 1802DDA0
	v_pk_mul_f32 v[112:113], v[160:161], v[112:113]            // 0000000074F4: D3B14070 1802E1A0
	v_pk_mul_f32 v[114:115], v[160:161], v[114:115]            // 0000000074FC: D3B14072 1802E5A0
	v_pk_mul_f32 v[116:117], v[162:163], v[116:117]            // 000000007504: D3B14074 1802E9A2
	v_pk_mul_f32 v[118:119], v[162:163], v[118:119]            // 00000000750C: D3B14076 1802EDA2
	v_pk_mul_f32 v[120:121], v[162:163], v[120:121]            // 000000007514: D3B14078 1802F1A2
	v_pk_mul_f32 v[122:123], v[162:163], v[122:123]            // 00000000751C: D3B1407A 1802F5A2
	ds_read_b128 v[172:175], v253                              // 000000007524: D9FE0000 AC0000FD
	ds_read_b128 v[176:179], v253 offset:256                   // 00000000752C: D9FE0100 B00000FD
	ds_read_b128 v[180:183], v253 offset:512                   // 000000007534: D9FE0200 B40000FD
	ds_read_b128 v[184:187], v253 offset:768                   // 00000000753C: D9FE0300 B80000FD
	s_waitcnt lgkmcnt(0)                                       // 000000007544: BF8CC07F
	v_max3_f32 v188, v172, v176, v188                          // 000000007548: D1D300BC 06F361AC
	v_max3_f32 v189, v173, v177, v189                          // 000000007550: D1D300BD 06F763AD
	v_max3_f32 v190, v174, v178, v190                          // 000000007558: D1D300BE 06FB65AE
	v_max3_f32 v188, v180, v184, v188                          // 000000007560: D1D300BC 06F371B4
	v_max3_f32 v189, v181, v185, v189                          // 000000007568: D1D300BD 06F773B5
	v_max3_f32 v190, v182, v186, v190                          // 000000007570: D1D300BE 06FB75B6
	v_max_f32_e32 v197, v188, v194                             // 000000007578: 178B85BC
	v_mul_f32_e64 v168, -s46, v197                             // 00000000757C: D10500A8 20038A2E
	v_mov_b32_e32 v169, v168                                   // 000000007584: 7F5203A8
	v_pk_fma_f32 v[4:5], v[4:5], s[46:47], v[168:169]          // 000000007588: D3B04004 1EA05D04
	v_pk_fma_f32 v[6:7], v[6:7], s[46:47], v[168:169]          // 000000007590: D3B04006 1EA05D06
	v_exp_f32_e32 v4, v4                                       // 000000007598: 7E084104
	v_exp_f32_e32 v5, v5                                       // 00000000759C: 7E0A4105
	v_exp_f32_e32 v6, v6                                       // 0000000075A0: 7E0C4106
	v_exp_f32_e32 v7, v7                                       // 0000000075A4: 7E0E4107
	v_pk_fma_f32 v[8:9], v[8:9], s[46:47], v[168:169]          // 0000000075A8: D3B04008 1EA05D08
	v_pk_fma_f32 v[10:11], v[10:11], s[46:47], v[168:169]      // 0000000075B0: D3B0400A 1EA05D0A
	v_exp_f32_e32 v8, v8                                       // 0000000075B8: 7E104108
	v_exp_f32_e32 v9, v9                                       // 0000000075BC: 7E124109
	v_exp_f32_e32 v10, v10                                     // 0000000075C0: 7E14410A
	v_exp_f32_e32 v11, v11                                     // 0000000075C4: 7E16410B
	v_pk_fma_f32 v[12:13], v[12:13], s[46:47], v[168:169]      // 0000000075C8: D3B0400C 1EA05D0C
	v_pk_fma_f32 v[14:15], v[14:15], s[46:47], v[168:169]      // 0000000075D0: D3B0400E 1EA05D0E
	v_exp_f32_e32 v12, v12                                     // 0000000075D8: 7E18410C
	v_exp_f32_e32 v13, v13                                     // 0000000075DC: 7E1A410D
	v_exp_f32_e32 v14, v14                                     // 0000000075E0: 7E1C410E
	v_exp_f32_e32 v15, v15                                     // 0000000075E4: 7E1E410F
	v_pk_fma_f32 v[16:17], v[16:17], s[46:47], v[168:169]      // 0000000075E8: D3B04010 1EA05D10
	v_pk_fma_f32 v[18:19], v[18:19], s[46:47], v[168:169]      // 0000000075F0: D3B04012 1EA05D12
	v_exp_f32_e32 v16, v16                                     // 0000000075F8: 7E204110
	v_exp_f32_e32 v17, v17                                     // 0000000075FC: 7E224111
	v_exp_f32_e32 v18, v18                                     // 000000007600: 7E244112
	v_exp_f32_e32 v19, v19                                     // 000000007604: 7E264113
	v_max_f32_e32 v198, v189, v195                             // 000000007608: 178D87BD
	v_mul_f32_e64 v168, -s46, v198                             // 00000000760C: D10500A8 20038C2E
	v_mov_b32_e32 v169, v168                                   // 000000007614: 7F5203A8
	v_pk_fma_f32 v[20:21], v[20:21], s[46:47], v[168:169]      // 000000007618: D3B04014 1EA05D14
	v_pk_fma_f32 v[22:23], v[22:23], s[46:47], v[168:169]      // 000000007620: D3B04016 1EA05D16
	v_exp_f32_e32 v20, v20                                     // 000000007628: 7E284114
	v_exp_f32_e32 v21, v21                                     // 00000000762C: 7E2A4115
	v_exp_f32_e32 v22, v22                                     // 000000007630: 7E2C4116
	v_exp_f32_e32 v23, v23                                     // 000000007634: 7E2E4117
	v_pk_fma_f32 v[24:25], v[24:25], s[46:47], v[168:169]      // 000000007638: D3B04018 1EA05D18
	v_pk_fma_f32 v[26:27], v[26:27], s[46:47], v[168:169]      // 000000007640: D3B0401A 1EA05D1A
	v_exp_f32_e32 v24, v24                                     // 000000007648: 7E304118
	v_exp_f32_e32 v25, v25                                     // 00000000764C: 7E324119
	v_exp_f32_e32 v26, v26                                     // 000000007650: 7E34411A
	v_exp_f32_e32 v27, v27                                     // 000000007654: 7E36411B
	v_pk_fma_f32 v[28:29], v[28:29], s[46:47], v[168:169]      // 000000007658: D3B0401C 1EA05D1C
	v_pk_fma_f32 v[30:31], v[30:31], s[46:47], v[168:169]      // 000000007660: D3B0401E 1EA05D1E
	v_exp_f32_e32 v28, v28                                     // 000000007668: 7E38411C
	v_exp_f32_e32 v29, v29                                     // 00000000766C: 7E3A411D
	v_exp_f32_e32 v30, v30                                     // 000000007670: 7E3C411E
	v_exp_f32_e32 v31, v31                                     // 000000007674: 7E3E411F
	v_pk_fma_f32 v[32:33], v[32:33], s[46:47], v[168:169]      // 000000007678: D3B04020 1EA05D20
	v_pk_fma_f32 v[34:35], v[34:35], s[46:47], v[168:169]      // 000000007680: D3B04022 1EA05D22
	v_exp_f32_e32 v32, v32                                     // 000000007688: 7E404120
	v_exp_f32_e32 v33, v33                                     // 00000000768C: 7E424121
	v_exp_f32_e32 v34, v34                                     // 000000007690: 7E444122
	v_exp_f32_e32 v35, v35                                     // 000000007694: 7E464123
	v_max_f32_e32 v199, v190, v196                             // 000000007698: 178F89BE
	v_mul_f32_e64 v168, -s46, v199                             // 00000000769C: D10500A8 20038E2E
	v_mov_b32_e32 v169, v168                                   // 0000000076A4: 7F5203A8
	v_pk_fma_f32 v[36:37], v[36:37], s[46:47], v[168:169]      // 0000000076A8: D3B04024 1EA05D24
	v_pk_fma_f32 v[38:39], v[38:39], s[46:47], v[168:169]      // 0000000076B0: D3B04026 1EA05D26
	v_exp_f32_e32 v36, v36                                     // 0000000076B8: 7E484124
	v_exp_f32_e32 v37, v37                                     // 0000000076BC: 7E4A4125
	v_exp_f32_e32 v38, v38                                     // 0000000076C0: 7E4C4126
	v_exp_f32_e32 v39, v39                                     // 0000000076C4: 7E4E4127
	v_pk_fma_f32 v[40:41], v[40:41], s[46:47], v[168:169]      // 0000000076C8: D3B04028 1EA05D28
	v_pk_fma_f32 v[42:43], v[42:43], s[46:47], v[168:169]      // 0000000076D0: D3B0402A 1EA05D2A
	v_exp_f32_e32 v40, v40                                     // 0000000076D8: 7E504128
	v_exp_f32_e32 v41, v41                                     // 0000000076DC: 7E524129
	v_exp_f32_e32 v42, v42                                     // 0000000076E0: 7E54412A
	v_exp_f32_e32 v43, v43                                     // 0000000076E4: 7E56412B
	v_mul_f32_e32 v52, v156, v4                                // 0000000076E8: 0A68099C
	v_mul_f32_e32 v53, v156, v5                                // 0000000076EC: 0A6A0B9C
	v_mul_f32_e32 v54, v156, v6                                // 0000000076F0: 0A6C0D9C
	v_mul_f32_e32 v55, v156, v7                                // 0000000076F4: 0A6E0F9C
	v_mul_f32_e32 v56, v156, v8                                // 0000000076F8: 0A70119C
	v_mul_f32_e32 v57, v156, v9                                // 0000000076FC: 0A72139C
	v_mul_f32_e32 v58, v156, v10                               // 000000007700: 0A74159C
	v_mul_f32_e32 v59, v156, v11                               // 000000007704: 0A76179C
	v_mul_f32_e32 v60, v156, v12                               // 000000007708: 0A78199C
	v_mul_f32_e32 v61, v156, v13                               // 00000000770C: 0A7A1B9C
	v_mul_f32_e32 v62, v156, v14                               // 000000007710: 0A7C1D9C
	v_mul_f32_e32 v63, v156, v15                               // 000000007714: 0A7E1F9C
	v_mul_f32_e32 v64, v156, v16                               // 000000007718: 0A80219C
	v_mul_f32_e32 v65, v156, v17                               // 00000000771C: 0A82239C
	v_mul_f32_e32 v66, v156, v18                               // 000000007720: 0A84259C
	v_mul_f32_e32 v67, v156, v19                               // 000000007724: 0A86279C
	v_mul_f32_e32 v68, v156, v20                               // 000000007728: 0A88299C
	v_mul_f32_e32 v69, v156, v21                               // 00000000772C: 0A8A2B9C
	v_mul_f32_e32 v70, v156, v22                               // 000000007730: 0A8C2D9C
	v_mul_f32_e32 v71, v156, v23                               // 000000007734: 0A8E2F9C
	v_mul_f32_e32 v72, v156, v24                               // 000000007738: 0A90319C
	v_mul_f32_e32 v73, v156, v25                               // 00000000773C: 0A92339C
	v_mul_f32_e32 v74, v156, v26                               // 000000007740: 0A94359C
	v_mul_f32_e32 v75, v156, v27                               // 000000007744: 0A96379C
	v_mul_f32_e32 v76, v156, v28                               // 000000007748: 0A98399C
	v_mul_f32_e32 v77, v156, v29                               // 00000000774C: 0A9A3B9C
	v_mul_f32_e32 v78, v156, v30                               // 000000007750: 0A9C3D9C
	v_mul_f32_e32 v79, v156, v31                               // 000000007754: 0A9E3F9C
	v_mul_f32_e32 v80, v156, v32                               // 000000007758: 0AA0419C
	v_mul_f32_e32 v81, v156, v33                               // 00000000775C: 0AA2439C
	v_mul_f32_e32 v82, v156, v34                               // 000000007760: 0AA4459C
	v_mul_f32_e32 v83, v156, v35                               // 000000007764: 0AA6479C
	v_mul_f32_e32 v84, v156, v36                               // 000000007768: 0AA8499C
	v_mul_f32_e32 v85, v156, v37                               // 00000000776C: 0AAA4B9C
	v_mul_f32_e32 v86, v156, v38                               // 000000007770: 0AAC4D9C
	v_mul_f32_e32 v87, v156, v39                               // 000000007774: 0AAE4F9C
	v_mul_f32_e32 v88, v156, v40                               // 000000007778: 0AB0519C
	v_mul_f32_e32 v89, v156, v41                               // 00000000777C: 0AB2539C
	v_mul_f32_e32 v90, v156, v42                               // 000000007780: 0AB4559C
	v_mul_f32_e32 v91, v156, v43                               // 000000007784: 0AB6579C
	buffer_load_dword v155, v238, s[20:23], 0 offen            // 000000007788: E0501000 80059BEE
	v_sub_f32_e32 v200, v194, v197                             // 000000007790: 05918BC2
	v_cmp_eq_u32_e64 s[98:99], v225, v194                      // 000000007794: D0CA0062 000385E1
	v_cndmask_b32_e64 v200, v200, 0, s[98:99]                  // 00000000779C: D10000C8 018901C8
	v_mov_b32_e32 v194, v197                                   // 0000000077A4: 7F8403C5
	v_mul_f32_e32 v200, s46, v200                              // 0000000077A8: 0B91902E
	v_exp_f32_e32 v200, v200                                   // 0000000077AC: 7F9041C8
	v_sub_f32_e32 v202, v195, v198                             // 0000000077B0: 05958DC3
	v_cmp_eq_u32_e64 s[98:99], v225, v195                      // 0000000077B4: D0CA0062 000387E1
	v_cndmask_b32_e64 v202, v202, 0, s[98:99]                  // 0000000077BC: D10000CA 018901CA
	v_mov_b32_e32 v195, v198                                   // 0000000077C4: 7F8603C6
	v_mul_f32_e32 v202, s46, v202                              // 0000000077C8: 0B95942E
	v_exp_f32_e32 v202, v202                                   // 0000000077CC: 7F9441CA
	v_sub_f32_e32 v204, v196, v199                             // 0000000077D0: 05998FC4
	v_cmp_eq_u32_e64 s[98:99], v225, v196                      // 0000000077D4: D0CA0062 000389E1
	v_cndmask_b32_e64 v204, v204, 0, s[98:99]                  // 0000000077DC: D10000CC 018901CC
	v_mov_b32_e32 v196, v199                                   // 0000000077E4: 7F8803C7
	v_mul_f32_e32 v204, s46, v204                              // 0000000077E8: 0B99982E
	v_exp_f32_e32 v204, v204                                   // 0000000077EC: 7F9841CC
	v_mov_b32_e32 v201, v200                                   // 0000000077F0: 7F9203C8
	v_mov_b32_e32 v203, v202                                   // 0000000077F4: 7F9603CA
	v_mov_b32_e32 v205, v204                                   // 0000000077F8: 7F9A03CC
	s_waitcnt lgkmcnt(0)                                       // 0000000077FC: BF8CC07F
	s_barrier                                                  // 000000007800: BF8A0000
	buffer_load_dword v157, v239, s[24:27], 0 offen            // 000000007804: E0501000 80069DEF
	v_mul_f32_e32 v206, v200, v206                             // 00000000780C: 0B9D9DC8
	v_mov_b32_e32 v207, 0                                      // 000000007810: 7F9E0280
	v_pk_add_f32 v[206:207], v[4:5], v[206:207]                // 000000007814: D3B240CE 18039D04
	v_pk_add_f32 v[206:207], v[6:7], v[206:207]                // 00000000781C: D3B240CE 18039D06
	v_pk_add_f32 v[206:207], v[8:9], v[206:207]                // 000000007824: D3B240CE 18039D08
	v_pk_add_f32 v[206:207], v[10:11], v[206:207]              // 00000000782C: D3B240CE 18039D0A
	v_pk_add_f32 v[206:207], v[12:13], v[206:207]              // 000000007834: D3B240CE 18039D0C
	v_pk_add_f32 v[206:207], v[14:15], v[206:207]              // 00000000783C: D3B240CE 18039D0E
	v_pk_add_f32 v[206:207], v[16:17], v[206:207]              // 000000007844: D3B240CE 18039D10
	v_pk_add_f32 v[206:207], v[18:19], v[206:207]              // 00000000784C: D3B240CE 18039D12
	v_add_f32_e32 v206, v207, v206                             // 000000007854: 039D9DCF
	v_mul_f32_e32 v208, v202, v208                             // 000000007858: 0BA1A1CA
	v_mov_b32_e32 v209, 0                                      // 00000000785C: 7FA20280
	v_pk_add_f32 v[208:209], v[20:21], v[208:209]              // 000000007860: D3B240D0 1803A114
	v_pk_add_f32 v[208:209], v[22:23], v[208:209]              // 000000007868: D3B240D0 1803A116
	v_pk_add_f32 v[208:209], v[24:25], v[208:209]              // 000000007870: D3B240D0 1803A118
	v_pk_add_f32 v[208:209], v[26:27], v[208:209]              // 000000007878: D3B240D0 1803A11A
	v_pk_add_f32 v[208:209], v[28:29], v[208:209]              // 000000007880: D3B240D0 1803A11C
	v_pk_add_f32 v[208:209], v[30:31], v[208:209]              // 000000007888: D3B240D0 1803A11E
	v_pk_add_f32 v[208:209], v[32:33], v[208:209]              // 000000007890: D3B240D0 1803A120
	v_pk_add_f32 v[208:209], v[34:35], v[208:209]              // 000000007898: D3B240D0 1803A122
	v_add_f32_e32 v208, v209, v208                             // 0000000078A0: 03A1A1D1
	v_mul_f32_e32 v210, v204, v210                             // 0000000078A4: 0BA5A5CC
	v_mov_b32_e32 v211, 0                                      // 0000000078A8: 7FA60280
	v_pk_add_f32 v[210:211], v[36:37], v[210:211]              // 0000000078AC: D3B240D2 1803A524
	v_pk_add_f32 v[210:211], v[38:39], v[210:211]              // 0000000078B4: D3B240D2 1803A526
	v_pk_add_f32 v[210:211], v[40:41], v[210:211]              // 0000000078BC: D3B240D2 1803A528
	v_pk_add_f32 v[210:211], v[42:43], v[210:211]              // 0000000078C4: D3B240D2 1803A52A
	v_add_f32_e32 v210, v211, v210                             // 0000000078CC: 03A5A5D3
	s_waitcnt lgkmcnt(0)                                       // 0000000078D0: BF8CC07F
	v_sub_f32_e32 v188, v188, v194                             // 0000000078D4: 057985BC
	v_sub_f32_e32 v189, v189, v195                             // 0000000078D8: 057B87BD
	v_sub_f32_e32 v190, v190, v196                             // 0000000078DC: 057D89BE
	v_mul_f32_e32 v188, s46, v188                              // 0000000078E0: 0B79782E
	v_mul_f32_e32 v189, s46, v189                              // 0000000078E4: 0B7B7A2E
	v_mul_f32_e32 v190, s46, v190                              // 0000000078E8: 0B7D7C2E
	v_exp_f32_e32 v188, v188                                   // 0000000078EC: 7F7841BC
	v_exp_f32_e32 v189, v189                                   // 0000000078F0: 7F7A41BD
	v_exp_f32_e32 v190, v190                                   // 0000000078F4: 7F7C41BE
	v_mul_f32_e32 v188, v156, v188                             // 0000000078F8: 0B79799C
	v_mul_f32_e32 v189, v156, v189                             // 0000000078FC: 0B7B7B9C
	v_mul_f32_e32 v190, v156, v190                             // 000000007900: 0B7D7D9C
	v_add_f32_e32 v188, 0x3089705f, v188                       // 000000007904: 037978FF 3089705F
	v_add_f32_e32 v189, 0x3089705f, v189                       // 00000000790C: 037B7AFF 3089705F
	v_add_f32_e32 v190, 0x3089705f, v190                       // 000000007914: 037D7CFF 3089705F
	v_rcp_f32_e32 v188, v188                                   // 00000000791C: 7F7845BC
	v_rcp_f32_e32 v189, v189                                   // 000000007920: 7F7A45BD
	v_rcp_f32_e32 v190, v190                                   // 000000007924: 7F7C45BE
	v_mul_f32_e32 v188, 0x43700000, v188                       // 000000007928: 0B7978FF 43700000
	v_mul_f32_e32 v189, 0x43700000, v189                       // 000000007930: 0B7B7AFF 43700000
	v_mul_f32_e32 v190, 0x43700000, v190                       // 000000007938: 0B7D7CFF 43700000
	v_mov_b32_e32 v192, v190                                   // 000000007940: 7F8003BE
	v_mov_b32_e32 v193, v190                                   // 000000007944: 7F8203BE
	v_mov_b32_e32 v190, v189                                   // 000000007948: 7F7C03BD
	v_mov_b32_e32 v191, v189                                   // 00000000794C: 7F7E03BD
	v_mov_b32_e32 v189, v188                                   // 000000007950: 7F7A03BC
	v_pk_mul_f32 v[4:5], v[188:189], v[52:53]                  // 000000007954: D3B14004 180269BC
	v_pk_mul_f32 v[6:7], v[188:189], v[54:55]                  // 00000000795C: D3B14006 18026DBC
	v_pk_mul_f32 v[8:9], v[188:189], v[56:57]                  // 000000007964: D3B14008 180271BC
	v_pk_mul_f32 v[10:11], v[188:189], v[58:59]                // 00000000796C: D3B1400A 180275BC
	v_pk_mul_f32 v[12:13], v[188:189], v[60:61]                // 000000007974: D3B1400C 180279BC
	v_pk_mul_f32 v[14:15], v[188:189], v[62:63]                // 00000000797C: D3B1400E 18027DBC
	v_pk_mul_f32 v[16:17], v[188:189], v[64:65]                // 000000007984: D3B14010 180281BC
	v_pk_mul_f32 v[18:19], v[188:189], v[66:67]                // 00000000798C: D3B14012 180285BC
	v_pk_mul_f32 v[20:21], v[190:191], v[68:69]                // 000000007994: D3B14014 180289BE
	v_pk_mul_f32 v[22:23], v[190:191], v[70:71]                // 00000000799C: D3B14016 18028DBE
	v_pk_mul_f32 v[24:25], v[190:191], v[72:73]                // 0000000079A4: D3B14018 180291BE
	v_pk_mul_f32 v[26:27], v[190:191], v[74:75]                // 0000000079AC: D3B1401A 180295BE
	v_pk_mul_f32 v[28:29], v[190:191], v[76:77]                // 0000000079B4: D3B1401C 180299BE
	v_pk_mul_f32 v[30:31], v[190:191], v[78:79]                // 0000000079BC: D3B1401E 18029DBE
	v_pk_mul_f32 v[32:33], v[190:191], v[80:81]                // 0000000079C4: D3B14020 1802A1BE
	v_pk_mul_f32 v[34:35], v[190:191], v[82:83]                // 0000000079CC: D3B14022 1802A5BE
	v_pk_mul_f32 v[36:37], v[192:193], v[84:85]                // 0000000079D4: D3B14024 1802A9C0
	v_pk_mul_f32 v[38:39], v[192:193], v[86:87]                // 0000000079DC: D3B14026 1802ADC0
	v_pk_mul_f32 v[40:41], v[192:193], v[88:89]                // 0000000079E4: D3B14028 1802B1C0
	v_pk_mul_f32 v[42:43], v[192:193], v[90:91]                // 0000000079EC: D3B1402A 1802B5C0
	v_cvt_pk_fp8_f32 v4, v4, v5                                // 0000000079F4: D2A20004 00020B04
	v_cvt_pk_fp8_f32 v4, v6, v7 op_sel:[0,0,1]                 // 0000000079FC: D2A24004 00020F06
	v_cvt_pk_fp8_f32 v5, v8, v9                                // 000000007A04: D2A20005 00021308
	v_cvt_pk_fp8_f32 v5, v10, v11 op_sel:[0,0,1]               // 000000007A0C: D2A24005 0002170A
	v_cvt_pk_fp8_f32 v6, v12, v13                              // 000000007A14: D2A20006 00021B0C
	v_cvt_pk_fp8_f32 v6, v14, v15 op_sel:[0,0,1]               // 000000007A1C: D2A24006 00021F0E
	v_cvt_pk_fp8_f32 v7, v16, v17                              // 000000007A24: D2A20007 00022310
	v_cvt_pk_fp8_f32 v7, v18, v19 op_sel:[0,0,1]               // 000000007A2C: D2A24007 00022712
	v_cvt_pk_fp8_f32 v8, v20, v21                              // 000000007A34: D2A20008 00022B14
	v_cvt_pk_fp8_f32 v8, v22, v23 op_sel:[0,0,1]               // 000000007A3C: D2A24008 00022F16
	v_cvt_pk_fp8_f32 v9, v24, v25                              // 000000007A44: D2A20009 00023318
	v_cvt_pk_fp8_f32 v9, v26, v27 op_sel:[0,0,1]               // 000000007A4C: D2A24009 0002371A
	v_cvt_pk_fp8_f32 v10, v28, v29                             // 000000007A54: D2A2000A 00023B1C
	v_cvt_pk_fp8_f32 v10, v30, v31 op_sel:[0,0,1]              // 000000007A5C: D2A2400A 00023F1E
	v_cvt_pk_fp8_f32 v11, v32, v33                             // 000000007A64: D2A2000B 00024320
	v_cvt_pk_fp8_f32 v11, v34, v35 op_sel:[0,0,1]              // 000000007A6C: D2A2400B 00024722
	v_cvt_pk_fp8_f32 v12, v36, v37                             // 000000007A74: D2A2000C 00024B24
	v_cvt_pk_fp8_f32 v12, v38, v39 op_sel:[0,0,1]              // 000000007A7C: D2A2400C 00024F26
	v_cvt_pk_fp8_f32 v13, v40, v41                             // 000000007A84: D2A2000D 00025328
	v_cvt_pk_fp8_f32 v13, v42, v43 op_sel:[0,0,1]              // 000000007A8C: D2A2400D 0002572A
	v_mov_b32_dpp v14, v12 row_shl:8 row_mask:0xf bank_mask:0xf bound_ctrl:1// 000000007A94: 7E1C02FA FF09080C
	v_and_b32_e32 v12, v12, v224                               // 000000007A9C: 2619C10C
	v_mov_b32_dpp v15, v13 row_shl:8 row_mask:0xf bank_mask:0xf bound_ctrl:1// 000000007AA0: 7E1E02FA FF09080D
	v_and_b32_e32 v13, v13, v224                               // 000000007AA8: 261BC10D
	ds_write_b32 v254, v4 offset:8192                          // 000000007AAC: D81A2000 000004FE
	ds_write_b32 v254, v5 offset:9216                          // 000000007AB4: D81A2400 000005FE
	ds_write_b32 v254, v6 offset:10240                         // 000000007ABC: D81A2800 000006FE
	ds_write_b32 v254, v7 offset:11264                         // 000000007AC4: D81A2C00 000007FE
	ds_write_b32 v254, v8 offset:12288                         // 000000007ACC: D81A3000 000008FE
	ds_write_b32 v254, v9 offset:13312                         // 000000007AD4: D81A3400 000009FE
	ds_write_b32 v254, v10 offset:14336                        // 000000007ADC: D81A3800 00000AFE
	ds_write_b32 v254, v11 offset:15360                        // 000000007AE4: D81A3C00 00000BFE
	ds_write_b32 v254, v12 offset:16384                        // 000000007AEC: D81A4000 00000CFE
	ds_write_b32 v254, v13 offset:17408                        // 000000007AF4: D81A4400 00000DFE
	ds_write_b32 v254, v14 offset:18432                        // 000000007AFC: D81A4800 00000EFE
	ds_write_b32 v254, v15 offset:19456                        // 000000007B04: D81A4C00 00000FFE
	v_rcp_f32_e32 v158, v188                                   // 000000007B0C: 7F3C45BC
	v_rcp_f32_e32 v160, v190                                   // 000000007B10: 7F4045BE
	v_rcp_f32_e32 v162, v192                                   // 000000007B14: 7F4445C0
	v_mov_b32_e32 v159, v158                                   // 000000007B18: 7F3E039E
	v_mov_b32_e32 v161, v160                                   // 000000007B1C: 7F4203A0
	v_mov_b32_e32 v163, v162                                   // 000000007B20: 7F4603A2
	v_pk_add_f32 v[124:125], v[124:125], v[100:101]            // 000000007B24: D3B2407C 1802C97C
	v_pk_add_f32 v[126:127], v[126:127], v[102:103]            // 000000007B2C: D3B2407E 1802CD7E
	v_pk_add_f32 v[128:129], v[128:129], v[104:105]            // 000000007B34: D3B24080 1802D180
	v_pk_add_f32 v[130:131], v[130:131], v[106:107]            // 000000007B3C: D3B24082 1802D582
	v_pk_add_f32 v[132:133], v[132:133], v[108:109]            // 000000007B44: D3B24084 1802D984
	v_pk_add_f32 v[134:135], v[134:135], v[110:111]            // 000000007B4C: D3B24086 1802DD86
	v_pk_add_f32 v[136:137], v[136:137], v[112:113]            // 000000007B54: D3B24088 1802E188
	v_pk_add_f32 v[138:139], v[138:139], v[114:115]            // 000000007B5C: D3B2408A 1802E58A
	v_pk_add_f32 v[140:141], v[140:141], v[116:117]            // 000000007B64: D3B2408C 1802E98C
	v_pk_add_f32 v[142:143], v[142:143], v[118:119]            // 000000007B6C: D3B2408E 1802ED8E
	v_pk_add_f32 v[144:145], v[144:145], v[120:121]            // 000000007B74: D3B24090 1802F190
	v_pk_add_f32 v[146:147], v[146:147], v[122:123]            // 000000007B7C: D3B24092 1802F592
	s_waitcnt lgkmcnt(0)                                       // 000000007B84: BF8CC07F
	s_barrier                                                  // 000000007B88: BF8A0000
	ds_read_b128 v[4:7], v255 offset:8192                      // 000000007B8C: D9FE2000 040000FF
	ds_read_b128 v[8:11], v255 offset:9216                     // 000000007B94: D9FE2400 080000FF
	ds_read_b128 v[12:15], v255 offset:10240                   // 000000007B9C: D9FE2800 0C0000FF
	ds_read_b128 v[16:19], v255 offset:11264                   // 000000007BA4: D9FE2C00 100000FF
	ds_read_b128 v[20:23], v255 offset:12288                   // 000000007BAC: D9FE3000 140000FF
	ds_read_b128 v[24:27], v255 offset:13312                   // 000000007BB4: D9FE3400 180000FF
	ds_read_b128 v[28:31], v255 offset:14336                   // 000000007BBC: D9FE3800 1C0000FF
	ds_read_b128 v[32:35], v255 offset:15360                   // 000000007BC4: D9FE3C00 200000FF
	ds_read_b128 v[36:39], v255 offset:16384                   // 000000007BCC: D9FE4000 240000FF
	ds_read_b128 v[40:43], v255 offset:17408                   // 000000007BD4: D9FE4400 280000FF
	ds_read_b128 v[44:47], v255 offset:18432                   // 000000007BDC: D9FE4800 2C0000FF
	ds_read_b128 v[48:51], v255 offset:19456                   // 000000007BE4: D9FE4C00 300000FF
	s_waitcnt vmcnt(10)                                        // 000000007BEC: BF8C0F7A
	s_waitcnt lgkmcnt(11)                                      // 000000007BF0: BF8CCB7F
	v_mfma_f32_16x16x32_fp8_fp8 v[100:103], a[88:89], v[4:5], 0// 000000007BF4: D3F30064 0A020958
	s_lshl_b32 s68, s76, 2                                     // 000000007BFC: 8E44824C
	v_mfma_f32_16x16x32_fp8_fp8 v[104:107], a[104:105], v[4:5], 0// 000000007C00: D3F30068 0A020968
	s_cmp_lt_u32 s76, s77                                      // 000000007C08: BF0A4D4C
	s_cselect_b32 s68, s68, 0                                  // 000000007C0C: 85448044
	v_mfma_f32_16x16x32_fp8_fp8 v[100:103], a[90:91], v[6:7], v[100:103]// 000000007C10: D3F30064 0D920D5A
	buffer_load_dwordx4 a[120:123], v234, s[16:19], 0 offen    // 000000007C18: E05C1000 808478EA
	v_mfma_f32_16x16x32_fp8_fp8 v[104:107], a[106:107], v[6:7], v[104:107]// 000000007C20: D3F30068 0DA20D6A
	s_addk_i32 s76, 0x1                                        // 000000007C28: B74C0001
	s_waitcnt lgkmcnt(10)                                      // 000000007C2C: BF8CCA7F
	v_mfma_f32_16x16x32_fp8_fp8 v[100:103], a[92:93], v[8:9], v[100:103]// 000000007C30: D3F30064 0D92115C
	v_mfma_f32_16x16x32_fp8_fp8 v[104:107], a[108:109], v[8:9], v[104:107]// 000000007C38: D3F30068 0DA2116C
	v_mfma_f32_16x16x32_fp8_fp8 v[100:103], a[94:95], v[10:11], v[100:103]// 000000007C40: D3F30064 0D92155E
	buffer_load_dwordx4 a[124:127], v235, s[16:19], 0 offen    // 000000007C48: E05C1000 80847CEB
	v_mfma_f32_16x16x32_fp8_fp8 v[104:107], a[110:111], v[10:11], v[104:107]// 000000007C50: D3F30068 0DA2156E
	s_waitcnt lgkmcnt(9)                                       // 000000007C58: BF8CC97F
	v_mfma_f32_16x16x32_fp8_fp8 v[100:103], a[96:97], v[12:13], v[100:103]// 000000007C5C: D3F30064 0D921960
	v_mfma_f32_16x16x32_fp8_fp8 v[104:107], a[112:113], v[12:13], v[104:107]// 000000007C64: D3F30068 0DA21970
	v_mfma_f32_16x16x32_fp8_fp8 v[100:103], a[98:99], v[14:15], v[100:103]// 000000007C6C: D3F30064 0D921D62
	buffer_load_dwordx4 a[128:131], v236, s[16:19], 0 offen    // 000000007C74: E05C1000 808480EC
	v_mfma_f32_16x16x32_fp8_fp8 v[104:107], a[114:115], v[14:15], v[104:107]// 000000007C7C: D3F30068 0DA21D72
	s_waitcnt lgkmcnt(8)                                       // 000000007C84: BF8CC87F
	v_mfma_f32_16x16x32_fp8_fp8 v[100:103], a[100:101], v[16:17], v[100:103]// 000000007C88: D3F30064 0D922164
	v_mfma_f32_16x16x32_fp8_fp8 v[104:107], a[116:117], v[16:17], v[104:107]// 000000007C90: D3F30068 0DA22174
	v_mfma_f32_16x16x32_fp8_fp8 v[100:103], a[102:103], v[18:19], v[100:103]// 000000007C98: D3F30064 0D922566
	buffer_load_dwordx4 a[132:135], v237, s[16:19], 0 offen    // 000000007CA0: E05C1000 808484ED
	v_mfma_f32_16x16x32_fp8_fp8 v[104:107], a[118:119], v[18:19], v[104:107]// 000000007CA8: D3F30068 0DA22576
	s_waitcnt lgkmcnt(7)                                       // 000000007CB0: BF8CC77F
	v_mfma_f32_16x16x32_fp8_fp8 v[108:111], a[88:89], v[20:21], 0// 000000007CB4: D3F3006C 0A022958
	v_mfma_f32_16x16x32_fp8_fp8 v[112:115], a[104:105], v[20:21], 0// 000000007CBC: D3F30070 0A022968
	v_mfma_f32_16x16x32_fp8_fp8 v[108:111], a[90:91], v[22:23], v[108:111]// 000000007CC4: D3F3006C 0DB22D5A
	buffer_load_dwordx4 a[136:139], v234, s[16:19], 0 offen offset:1024// 000000007CCC: E05C1400 808488EA
	v_mfma_f32_16x16x32_fp8_fp8 v[112:115], a[106:107], v[22:23], v[112:115]// 000000007CD4: D3F30070 0DC22D6A
	s_waitcnt lgkmcnt(6)                                       // 000000007CDC: BF8CC67F
	v_mfma_f32_16x16x32_fp8_fp8 v[108:111], a[92:93], v[24:25], v[108:111]// 000000007CE0: D3F3006C 0DB2315C
	v_mfma_f32_16x16x32_fp8_fp8 v[112:115], a[108:109], v[24:25], v[112:115]// 000000007CE8: D3F30070 0DC2316C
	v_mfma_f32_16x16x32_fp8_fp8 v[108:111], a[94:95], v[26:27], v[108:111]// 000000007CF0: D3F3006C 0DB2355E
	buffer_load_dwordx4 a[140:143], v235, s[16:19], 0 offen offset:1024// 000000007CF8: E05C1400 80848CEB
	v_mfma_f32_16x16x32_fp8_fp8 v[112:115], a[110:111], v[26:27], v[112:115]// 000000007D00: D3F30070 0DC2356E
	s_waitcnt lgkmcnt(5)                                       // 000000007D08: BF8CC57F
	v_mfma_f32_16x16x32_fp8_fp8 v[108:111], a[96:97], v[28:29], v[108:111]// 000000007D0C: D3F3006C 0DB23960
	v_mfma_f32_16x16x32_fp8_fp8 v[112:115], a[112:113], v[28:29], v[112:115]// 000000007D14: D3F30070 0DC23970
	v_mfma_f32_16x16x32_fp8_fp8 v[108:111], a[98:99], v[30:31], v[108:111]// 000000007D1C: D3F3006C 0DB23D62
	buffer_load_dwordx4 a[144:147], v236, s[16:19], 0 offen offset:1024// 000000007D24: E05C1400 808490EC
	v_mfma_f32_16x16x32_fp8_fp8 v[112:115], a[114:115], v[30:31], v[112:115]// 000000007D2C: D3F30070 0DC23D72
	s_waitcnt lgkmcnt(4)                                       // 000000007D34: BF8CC47F
	v_mfma_f32_16x16x32_fp8_fp8 v[108:111], a[100:101], v[32:33], v[108:111]// 000000007D38: D3F3006C 0DB24164
	v_mfma_f32_16x16x32_fp8_fp8 v[112:115], a[116:117], v[32:33], v[112:115]// 000000007D40: D3F30070 0DC24174
	v_mfma_f32_16x16x32_fp8_fp8 v[108:111], a[102:103], v[34:35], v[108:111]// 000000007D48: D3F3006C 0DB24566
	buffer_load_dwordx4 a[148:151], v237, s[16:19], 0 offen offset:1024// 000000007D50: E05C1400 808494ED
	v_mfma_f32_16x16x32_fp8_fp8 v[112:115], a[118:119], v[34:35], v[112:115]// 000000007D58: D3F30070 0DC24576
	s_waitcnt lgkmcnt(3)                                       // 000000007D60: BF8CC37F
	v_mfma_f32_16x16x32_fp8_fp8 v[116:119], a[88:89], v[36:37], 0// 000000007D64: D3F30074 0A024958
	v_mfma_f32_16x16x32_fp8_fp8 v[120:123], a[104:105], v[36:37], 0// 000000007D6C: D3F30078 0A024968
	v_mfma_f32_16x16x32_fp8_fp8 v[116:119], a[90:91], v[38:39], v[116:119]// 000000007D74: D3F30074 0DD24D5A
	v_mfma_f32_16x16x32_fp8_fp8 v[120:123], a[106:107], v[38:39], v[120:123]// 000000007D7C: D3F30078 0DE24D6A
	s_waitcnt lgkmcnt(2)                                       // 000000007D84: BF8CC27F
	v_mfma_f32_16x16x32_fp8_fp8 v[116:119], a[92:93], v[40:41], v[116:119]// 000000007D88: D3F30074 0DD2515C
	v_mfma_f32_16x16x32_fp8_fp8 v[120:123], a[108:109], v[40:41], v[120:123]// 000000007D90: D3F30078 0DE2516C
	v_mfma_f32_16x16x32_fp8_fp8 v[116:119], a[94:95], v[42:43], v[116:119]// 000000007D98: D3F30074 0DD2555E
	v_mfma_f32_16x16x32_fp8_fp8 v[120:123], a[110:111], v[42:43], v[120:123]// 000000007DA0: D3F30078 0DE2556E
	s_waitcnt lgkmcnt(1)                                       // 000000007DA8: BF8CC17F
	v_mfma_f32_16x16x32_fp8_fp8 v[116:119], a[96:97], v[44:45], v[116:119]// 000000007DAC: D3F30074 0DD25960
	v_mfma_f32_16x16x32_fp8_fp8 v[120:123], a[112:113], v[44:45], v[120:123]// 000000007DB4: D3F30078 0DE25970
	v_mfma_f32_16x16x32_fp8_fp8 v[116:119], a[98:99], v[46:47], v[116:119]// 000000007DBC: D3F30074 0DD25D62
	v_mfma_f32_16x16x32_fp8_fp8 v[120:123], a[114:115], v[46:47], v[120:123]// 000000007DC4: D3F30078 0DE25D72
	s_waitcnt lgkmcnt(0)                                       // 000000007DCC: BF8CC07F
	v_mfma_f32_16x16x32_fp8_fp8 v[116:119], a[100:101], v[48:49], v[116:119]// 000000007DD0: D3F30074 0DD26164
	v_mfma_f32_16x16x32_fp8_fp8 v[120:123], a[116:117], v[48:49], v[120:123]// 000000007DD8: D3F30078 0DE26174
	v_mfma_f32_16x16x32_fp8_fp8 v[116:119], a[102:103], v[50:51], v[116:119]// 000000007DE0: D3F30074 0DD26566
	v_mfma_f32_16x16x32_fp8_fp8 v[120:123], a[118:119], v[50:51], v[120:123]// 000000007DE8: D3F30078 0DE26576
	s_load_dword s59, s[42:43], s68                            // 000000007DF0: C0000ED5 00000044
	s_addk_i32 s64, 0x100                                      // 000000007DF8: B7400100
	s_cmp_lt_i32 s64, s63                                      // 000000007DFC: BF043F40
	s_cbranch_scc0 label_276C                                  // 000000007E00: BF84116B
	s_waitcnt vmcnt(10)                                        // 000000007E04: BF8C0F7A
	v_mfma_f32_16x16x32_fp8_fp8 v[4:7], a[56:57], a[0:1], 0    // 000000007E08: D3F30004 1A020138
	s_add_u32 s12, s86, s69                                    // 000000007E10: 800C4556
	s_addc_u32 s13, s87, 0                                     // 000000007E14: 820D8057
	v_mfma_f32_16x16x32_fp8_fp8 v[4:7], a[58:59], a[2:3], v[4:7]// 000000007E18: D3F30004 1C12053A
	s_add_u32 s16, s88, s70                                    // 000000007E20: 80104658
	s_addc_u32 s17, s89, 0                                     // 000000007E24: 82118059
	v_mfma_f32_16x16x32_fp8_fp8 v[4:7], a[60:61], a[4:5], v[4:7]// 000000007E28: D3F30004 1C12093C
	buffer_load_dwordx4 a[24:27], v232, s[12:15], 0 offen      // 000000007E30: E05C1000 808318E8
	v_mfma_f32_16x16x32_fp8_fp8 v[4:7], a[62:63], a[6:7], v[4:7]// 000000007E38: D3F30004 1C120D3E
	s_add_u32 s20, s90, s71                                    // 000000007E40: 8014475A
	s_addc_u32 s21, s91, 0                                     // 000000007E44: 8215805B
	v_mfma_f32_16x16x32_fp8_fp8 v[8:11], a[64:65], a[0:1], 0   // 000000007E48: D3F30008 1A020140
	s_add_u32 s24, s92, s71                                    // 000000007E50: 8018475C
	s_addc_u32 s25, s93, 0                                     // 000000007E54: 8219805D
	v_mfma_f32_16x16x32_fp8_fp8 v[8:11], a[66:67], a[2:3], v[8:11]// 000000007E58: D3F30008 1C220542
	s_add_u32 s69, s69, 0x1000                                 // 000000007E60: 8045FF45 00001000
	s_add_u32 s70, s70, 0x8000                                 // 000000007E68: 8046FF46 00008000
	v_mfma_f32_16x16x32_fp8_fp8 v[8:11], a[68:69], a[4:5], v[8:11]// 000000007E70: D3F30008 1C220944
	buffer_load_dwordx4 a[28:31], v233, s[12:15], 0 offen      // 000000007E78: E05C1000 80831CE9
	v_mfma_f32_16x16x32_fp8_fp8 v[8:11], a[70:71], a[6:7], v[8:11]// 000000007E80: D3F30008 1C220D46
	v_mfma_f32_16x16x32_fp8_fp8 v[12:15], a[72:73], a[0:1], 0  // 000000007E88: D3F3000C 1A020148
	v_mfma_f32_16x16x32_fp8_fp8 v[12:15], a[74:75], a[2:3], v[12:15]// 000000007E90: D3F3000C 1C32054A
	v_mfma_f32_16x16x32_fp8_fp8 v[12:15], a[76:77], a[4:5], v[12:15]// 000000007E98: D3F3000C 1C32094C
	buffer_load_dwordx4 a[32:35], v232, s[12:15], 0 offen offset:1024// 000000007EA0: E05C1400 808320E8
	v_mfma_f32_16x16x32_fp8_fp8 v[12:15], a[78:79], a[6:7], v[12:15]// 000000007EA8: D3F3000C 1C320D4E
	v_mfma_f32_16x16x32_fp8_fp8 v[16:19], a[80:81], a[0:1], 0  // 000000007EB0: D3F30010 1A020150
	v_mfma_f32_16x16x32_fp8_fp8 v[16:19], a[82:83], a[2:3], v[16:19]// 000000007EB8: D3F30010 1C420552
	v_mfma_f32_16x16x32_fp8_fp8 v[16:19], a[84:85], a[4:5], v[16:19]// 000000007EC0: D3F30010 1C420954
	buffer_load_dwordx4 a[36:39], v233, s[12:15], 0 offen offset:1024// 000000007EC8: E05C1400 808324E9
	v_mfma_f32_16x16x32_fp8_fp8 v[16:19], a[86:87], a[6:7], v[16:19]// 000000007ED0: D3F30010 1C420D56
	v_mfma_f32_16x16x32_fp8_fp8 v[20:23], a[56:57], a[8:9], 0  // 000000007ED8: D3F30014 1A021138
	v_mfma_f32_16x16x32_fp8_fp8 v[20:23], a[58:59], a[10:11], v[20:23]// 000000007EE0: D3F30014 1C52153A
	v_mfma_f32_16x16x32_fp8_fp8 v[20:23], a[60:61], a[12:13], v[20:23]// 000000007EE8: D3F30014 1C52193C
	buffer_load_dwordx4 a[40:43], v232, s[12:15], 0 offen offset:2048// 000000007EF0: E05C1800 808328E8
	v_mfma_f32_16x16x32_fp8_fp8 v[20:23], a[62:63], a[14:15], v[20:23]// 000000007EF8: D3F30014 1C521D3E
	v_mfma_f32_16x16x32_fp8_fp8 v[24:27], a[64:65], a[8:9], 0  // 000000007F00: D3F30018 1A021140
	v_mfma_f32_16x16x32_fp8_fp8 v[24:27], a[66:67], a[10:11], v[24:27]// 000000007F08: D3F30018 1C621542
	v_mfma_f32_16x16x32_fp8_fp8 v[24:27], a[68:69], a[12:13], v[24:27]// 000000007F10: D3F30018 1C621944
	buffer_load_dwordx4 a[44:47], v233, s[12:15], 0 offen offset:2048// 000000007F18: E05C1800 80832CE9
	v_mfma_f32_16x16x32_fp8_fp8 v[24:27], a[70:71], a[14:15], v[24:27]// 000000007F20: D3F30018 1C621D46
	v_mfma_f32_16x16x32_fp8_fp8 v[28:31], a[72:73], a[8:9], 0  // 000000007F28: D3F3001C 1A021148
	v_mfma_f32_16x16x32_fp8_fp8 v[28:31], a[74:75], a[10:11], v[28:31]// 000000007F30: D3F3001C 1C72154A
	v_mfma_f32_16x16x32_fp8_fp8 v[28:31], a[76:77], a[12:13], v[28:31]// 000000007F38: D3F3001C 1C72194C
	buffer_load_dwordx4 a[48:51], v232, s[12:15], 0 offen offset:3072// 000000007F40: E05C1C00 808330E8
	v_mfma_f32_16x16x32_fp8_fp8 v[28:31], a[78:79], a[14:15], v[28:31]// 000000007F48: D3F3001C 1C721D4E
	v_mfma_f32_16x16x32_fp8_fp8 v[32:35], a[80:81], a[8:9], 0  // 000000007F50: D3F30020 1A021150
	v_mfma_f32_16x16x32_fp8_fp8 v[32:35], a[82:83], a[10:11], v[32:35]// 000000007F58: D3F30020 1C821552
	v_mfma_f32_16x16x32_fp8_fp8 v[32:35], a[84:85], a[12:13], v[32:35]// 000000007F60: D3F30020 1C821954
	buffer_load_dwordx4 a[52:55], v233, s[12:15], 0 offen offset:3072// 000000007F68: E05C1C00 808334E9
	v_mfma_f32_16x16x32_fp8_fp8 v[32:35], a[86:87], a[14:15], v[32:35]// 000000007F70: D3F30020 1C821D56
	v_mfma_f32_16x16x32_fp8_fp8 v[36:39], a[56:57], a[16:17], 0// 000000007F78: D3F30024 1A022138
	v_mfma_f32_16x16x32_fp8_fp8 v[36:39], a[58:59], a[18:19], v[36:39]// 000000007F80: D3F30024 1C92253A
	v_mfma_f32_16x16x32_fp8_fp8 v[36:39], a[60:61], a[20:21], v[36:39]// 000000007F88: D3F30024 1C92293C
	v_mfma_f32_16x16x32_fp8_fp8 v[36:39], a[62:63], a[22:23], v[36:39]// 000000007F90: D3F30024 1C922D3E
	v_mfma_f32_16x16x32_fp8_fp8 v[40:43], a[64:65], a[16:17], 0// 000000007F98: D3F30028 1A022140
	v_mfma_f32_16x16x32_fp8_fp8 v[40:43], a[66:67], a[18:19], v[40:43]// 000000007FA0: D3F30028 1CA22542
	v_mfma_f32_16x16x32_fp8_fp8 v[40:43], a[68:69], a[20:21], v[40:43]// 000000007FA8: D3F30028 1CA22944
	v_mfma_f32_16x16x32_fp8_fp8 v[40:43], a[70:71], a[22:23], v[40:43]// 000000007FB0: D3F30028 1CA22D46
	v_mfma_f32_16x16x32_fp8_fp8 v[44:47], a[72:73], a[16:17], 0// 000000007FB8: D3F3002C 1A022148
	v_mfma_f32_16x16x32_fp8_fp8 v[44:47], a[74:75], a[18:19], v[44:47]// 000000007FC0: D3F3002C 1CB2254A
	v_mfma_f32_16x16x32_fp8_fp8 v[44:47], a[76:77], a[20:21], v[44:47]// 000000007FC8: D3F3002C 1CB2294C
	v_mfma_f32_16x16x32_fp8_fp8 v[44:47], a[78:79], a[22:23], v[44:47]// 000000007FD0: D3F3002C 1CB22D4E
	v_mfma_f32_16x16x32_fp8_fp8 v[48:51], a[80:81], a[16:17], 0// 000000007FD8: D3F30030 1A022150
	v_mfma_f32_16x16x32_fp8_fp8 v[48:51], a[82:83], a[18:19], v[48:51]// 000000007FE0: D3F30030 1CC22552
	v_mfma_f32_16x16x32_fp8_fp8 v[48:51], a[84:85], a[20:21], v[48:51]// 000000007FE8: D3F30030 1CC22954
	v_mfma_f32_16x16x32_fp8_fp8 v[48:51], a[86:87], a[22:23], v[48:51]// 000000007FF0: D3F30030 1CC22D56
	s_waitcnt vmcnt(16)                                        // 000000007FF8: BF8C4F70
	v_or_b32_dpp v36, v44, v36 row_shr:8 row_mask:0xf bank_mask:0xf bound_ctrl:1// 000000007FFC: 284848FA FF09182C
	v_or_b32_dpp v37, v45, v37 row_shr:8 row_mask:0xf bank_mask:0xf bound_ctrl:1// 000000008004: 284A4AFA FF09182D
	v_or_b32_dpp v38, v46, v38 row_shr:8 row_mask:0xf bank_mask:0xf bound_ctrl:1// 00000000800C: 284C4CFA FF09182E
	v_or_b32_dpp v39, v47, v39 row_shr:8 row_mask:0xf bank_mask:0xf bound_ctrl:1// 000000008014: 284E4EFA FF09182F
	v_or_b32_dpp v40, v48, v40 row_shr:8 row_mask:0xf bank_mask:0xf bound_ctrl:1// 00000000801C: 285050FA FF091830
	v_or_b32_dpp v41, v49, v41 row_shr:8 row_mask:0xf bank_mask:0xf bound_ctrl:1// 000000008024: 285252FA FF091831
	v_or_b32_dpp v42, v50, v42 row_shr:8 row_mask:0xf bank_mask:0xf bound_ctrl:1// 00000000802C: 285454FA FF091832
	v_or_b32_dpp v43, v51, v43 row_shr:8 row_mask:0xf bank_mask:0xf bound_ctrl:1// 000000008034: 285656FA FF091833
	v_pk_mul_f32 v[4:5], v[148:149], v[4:5]                    // 00000000803C: D3B14004 18020994
	v_pk_mul_f32 v[6:7], v[148:149], v[6:7]                    // 000000008044: D3B14006 18020D94
	v_pk_mul_f32 v[8:9], v[148:149], v[8:9]                    // 00000000804C: D3B14008 18021194
	v_pk_mul_f32 v[10:11], v[148:149], v[10:11]                // 000000008054: D3B1400A 18021594
	v_pk_mul_f32 v[12:13], v[148:149], v[12:13]                // 00000000805C: D3B1400C 18021994
	v_pk_mul_f32 v[14:15], v[148:149], v[14:15]                // 000000008064: D3B1400E 18021D94
	v_pk_mul_f32 v[16:17], v[148:149], v[16:17]                // 00000000806C: D3B14010 18022194
	v_pk_mul_f32 v[18:19], v[148:149], v[18:19]                // 000000008074: D3B14012 18022594
	v_mul_f32_e32 v4, v155, v4                                 // 00000000807C: 0A08099B
	v_mul_f32_e32 v5, v155, v5                                 // 000000008080: 0A0A0B9B
	v_mul_f32_e32 v6, v155, v6                                 // 000000008084: 0A0C0D9B
	v_mul_f32_e32 v7, v155, v7                                 // 000000008088: 0A0E0F9B
	v_mul_f32_e32 v8, v155, v8                                 // 00000000808C: 0A10119B
	v_mul_f32_e32 v9, v155, v9                                 // 000000008090: 0A12139B
	v_mul_f32_e32 v10, v155, v10                               // 000000008094: 0A14159B
	v_mul_f32_e32 v11, v155, v11                               // 000000008098: 0A16179B
	v_mul_f32_e32 v12, v155, v12                               // 00000000809C: 0A18199B
	v_mul_f32_e32 v13, v155, v13                               // 0000000080A0: 0A1A1B9B
	v_mul_f32_e32 v14, v155, v14                               // 0000000080A4: 0A1C1D9B
	v_mul_f32_e32 v15, v155, v15                               // 0000000080A8: 0A1E1F9B
	v_mul_f32_e32 v16, v155, v16                               // 0000000080AC: 0A20219B
	v_mul_f32_e32 v17, v155, v17                               // 0000000080B0: 0A22239B
	v_mul_f32_e32 v18, v155, v18                               // 0000000080B4: 0A24259B
	v_mul_f32_e32 v19, v155, v19                               // 0000000080B8: 0A26279B
	v_pk_mul_f32 v[20:21], v[150:151], v[20:21]                // 0000000080BC: D3B14014 18022996
	v_pk_mul_f32 v[22:23], v[150:151], v[22:23]                // 0000000080C4: D3B14016 18022D96
	v_pk_mul_f32 v[24:25], v[150:151], v[24:25]                // 0000000080CC: D3B14018 18023196
	v_pk_mul_f32 v[26:27], v[150:151], v[26:27]                // 0000000080D4: D3B1401A 18023596
	v_pk_mul_f32 v[28:29], v[150:151], v[28:29]                // 0000000080DC: D3B1401C 18023996
	v_pk_mul_f32 v[30:31], v[150:151], v[30:31]                // 0000000080E4: D3B1401E 18023D96
	v_pk_mul_f32 v[32:33], v[150:151], v[32:33]                // 0000000080EC: D3B14020 18024196
	v_pk_mul_f32 v[34:35], v[150:151], v[34:35]                // 0000000080F4: D3B14022 18024596
	v_mul_f32_e32 v20, v155, v20                               // 0000000080FC: 0A28299B
	v_mul_f32_e32 v21, v155, v21                               // 000000008100: 0A2A2B9B
	v_mul_f32_e32 v22, v155, v22                               // 000000008104: 0A2C2D9B
	v_mul_f32_e32 v23, v155, v23                               // 000000008108: 0A2E2F9B
	v_mul_f32_e32 v24, v155, v24                               // 00000000810C: 0A30319B
	v_mul_f32_e32 v25, v155, v25                               // 000000008110: 0A32339B
	v_mul_f32_e32 v26, v155, v26                               // 000000008114: 0A34359B
	v_mul_f32_e32 v27, v155, v27                               // 000000008118: 0A36379B
	v_mul_f32_e32 v28, v155, v28                               // 00000000811C: 0A38399B
	v_mul_f32_e32 v29, v155, v29                               // 000000008120: 0A3A3B9B
	v_mul_f32_e32 v30, v155, v30                               // 000000008124: 0A3C3D9B
	v_mul_f32_e32 v31, v155, v31                               // 000000008128: 0A3E3F9B
	v_mul_f32_e32 v32, v155, v32                               // 00000000812C: 0A40419B
	v_mul_f32_e32 v33, v155, v33                               // 000000008130: 0A42439B
	v_mul_f32_e32 v34, v155, v34                               // 000000008134: 0A44459B
	v_mul_f32_e32 v35, v155, v35                               // 000000008138: 0A46479B
	v_pk_mul_f32 v[36:37], v[152:153], v[36:37]                // 00000000813C: D3B14024 18024998
	v_pk_mul_f32 v[38:39], v[152:153], v[38:39]                // 000000008144: D3B14026 18024D98
	v_pk_mul_f32 v[40:41], v[152:153], v[40:41]                // 00000000814C: D3B14028 18025198
	v_pk_mul_f32 v[42:43], v[152:153], v[42:43]                // 000000008154: D3B1402A 18025598
	v_mul_f32_e32 v36, v155, v36                               // 00000000815C: 0A48499B
	v_mul_f32_e32 v37, v155, v37                               // 000000008160: 0A4A4B9B
	v_mul_f32_e32 v38, v155, v38                               // 000000008164: 0A4C4D9B
	v_mul_f32_e32 v39, v155, v39                               // 000000008168: 0A4E4F9B
	v_mul_f32_e32 v40, v155, v40                               // 00000000816C: 0A50519B
	v_mul_f32_e32 v41, v155, v41                               // 000000008170: 0A52539B
	v_mul_f32_e32 v42, v155, v42                               // 000000008174: 0A54559B
	v_mul_f32_e32 v43, v155, v43                               // 000000008178: 0A56579B
	v_mov_b32_e32 v190, v36                                    // 00000000817C: 7F7C0324
	v_max3_f32 v190, v36, v37, v190                            // 000000008180: D1D300BE 06FA4B24
	v_max3_f32 v190, v38, v39, v190                            // 000000008188: D1D300BE 06FA4F26
	v_max3_f32 v190, v40, v41, v190                            // 000000008190: D1D300BE 06FA5328
	v_max3_f32 v190, v42, v43, v190                            // 000000008198: D1D300BE 06FA572A
	v_mov_b32_e32 v189, v20                                    // 0000000081A0: 7F7A0314
	v_max3_f32 v189, v20, v21, v189                            // 0000000081A4: D1D300BD 06F62B14
	v_max3_f32 v189, v22, v23, v189                            // 0000000081AC: D1D300BD 06F62F16
	v_max3_f32 v189, v24, v25, v189                            // 0000000081B4: D1D300BD 06F63318
	v_max3_f32 v189, v26, v27, v189                            // 0000000081BC: D1D300BD 06F6371A
	v_max3_f32 v189, v28, v29, v189                            // 0000000081C4: D1D300BD 06F63B1C
	v_max3_f32 v189, v30, v31, v189                            // 0000000081CC: D1D300BD 06F63F1E
	v_max3_f32 v189, v32, v33, v189                            // 0000000081D4: D1D300BD 06F64320
	v_max3_f32 v189, v34, v35, v189                            // 0000000081DC: D1D300BD 06F64722
	v_mov_b32_e32 v188, v4                                     // 0000000081E4: 7F780304
	v_max3_f32 v188, v4, v5, v188                              // 0000000081E8: D1D300BC 06F20B04
	v_max3_f32 v188, v6, v7, v188                              // 0000000081F0: D1D300BC 06F20F06
	v_max3_f32 v188, v8, v9, v188                              // 0000000081F8: D1D300BC 06F21308
	v_max3_f32 v188, v10, v11, v188                            // 000000008200: D1D300BC 06F2170A
	v_max3_f32 v188, v12, v13, v188                            // 000000008208: D1D300BC 06F21B0C
	v_max3_f32 v188, v14, v15, v188                            // 000000008210: D1D300BC 06F21F0E
	v_max3_f32 v188, v16, v17, v188                            // 000000008218: D1D300BC 06F22310
	v_max3_f32 v188, v18, v19, v188                            // 000000008220: D1D300BC 06F22712
	v_max_f32_dpp v190, v190, v190 row_ror:8 row_mask:0xf bank_mask:0xf// 000000008228: 177D7CFA FF0128BE
	v_pk_mul_f32 v[124:125], v[200:201], v[124:125]            // 000000008230: D3B1407C 1802F9C8
	v_pk_mul_f32 v[126:127], v[200:201], v[126:127]            // 000000008238: D3B1407E 1802FDC8
	v_pk_mul_f32 v[128:129], v[200:201], v[128:129]            // 000000008240: D3B14080 180301C8
	v_pk_mul_f32 v[130:131], v[200:201], v[130:131]            // 000000008248: D3B14082 180305C8
	v_pk_mul_f32 v[132:133], v[202:203], v[132:133]            // 000000008250: D3B14084 180309CA
	v_pk_mul_f32 v[134:135], v[202:203], v[134:135]            // 000000008258: D3B14086 18030DCA
	v_pk_mul_f32 v[136:137], v[202:203], v[136:137]            // 000000008260: D3B14088 180311CA
	v_pk_mul_f32 v[138:139], v[202:203], v[138:139]            // 000000008268: D3B1408A 180315CA
	v_pk_mul_f32 v[140:141], v[204:205], v[140:141]            // 000000008270: D3B1408C 180319CC
	v_pk_mul_f32 v[142:143], v[204:205], v[142:143]            // 000000008278: D3B1408E 18031DCC
	v_pk_mul_f32 v[144:145], v[204:205], v[144:145]            // 000000008280: D3B14090 180321CC
	v_pk_mul_f32 v[146:147], v[204:205], v[146:147]            // 000000008288: D3B14092 180325CC
	ds_bpermute_b32 v172, v212, v188                           // 000000008290: D87E0000 AC00BCD4
	ds_bpermute_b32 v173, v213, v188                           // 000000008298: D87E0000 AD00BCD5
	ds_bpermute_b32 v174, v214, v188                           // 0000000082A0: D87E0000 AE00BCD6
	ds_bpermute_b32 v175, v212, v189                           // 0000000082A8: D87E0000 AF00BDD4
	ds_bpermute_b32 v176, v213, v189                           // 0000000082B0: D87E0000 B000BDD5
	ds_bpermute_b32 v177, v214, v189                           // 0000000082B8: D87E0000 B100BDD6
	ds_bpermute_b32 v178, v212, v190                           // 0000000082C0: D87E0000 B200BED4
	ds_bpermute_b32 v179, v213, v190                           // 0000000082C8: D87E0000 B300BED5
	ds_bpermute_b32 v180, v214, v190                           // 0000000082D0: D87E0000 B400BED6
	s_waitcnt lgkmcnt(6)                                       // 0000000082D8: BF8CC67F
	v_max3_f32 v188, v172, v173, v188                          // 0000000082DC: D1D300BC 06F35BAC
	v_max_f32_e32 v188, v174, v188                             // 0000000082E4: 177979AE
	s_waitcnt lgkmcnt(3)                                       // 0000000082E8: BF8CC37F
	v_max3_f32 v189, v175, v176, v189                          // 0000000082EC: D1D300BD 06F761AF
	v_max_f32_e32 v189, v177, v189                             // 0000000082F4: 177B7BB1
	s_waitcnt lgkmcnt(0)                                       // 0000000082F8: BF8CC07F
	v_max3_f32 v190, v178, v179, v190                          // 0000000082FC: D1D300BE 06FB67B2
	v_max_f32_e32 v190, v180, v190                             // 000000008304: 177D7DB4
	ds_write_b128 v252, v[188:191]                             // 000000008308: D9BE0000 0000BCFC
	s_waitcnt lgkmcnt(0)                                       // 000000008310: BF8CC07F
	s_barrier                                                  // 000000008314: BF8A0000
	v_pk_mul_f32 v[100:101], v[158:159], v[100:101]            // 000000008318: D3B14064 1802C99E
	v_pk_mul_f32 v[102:103], v[158:159], v[102:103]            // 000000008320: D3B14066 1802CD9E
	v_pk_mul_f32 v[104:105], v[158:159], v[104:105]            // 000000008328: D3B14068 1802D19E
	v_pk_mul_f32 v[106:107], v[158:159], v[106:107]            // 000000008330: D3B1406A 1802D59E
	v_pk_mul_f32 v[108:109], v[160:161], v[108:109]            // 000000008338: D3B1406C 1802D9A0
	v_pk_mul_f32 v[110:111], v[160:161], v[110:111]            // 000000008340: D3B1406E 1802DDA0
	v_pk_mul_f32 v[112:113], v[160:161], v[112:113]            // 000000008348: D3B14070 1802E1A0
	v_pk_mul_f32 v[114:115], v[160:161], v[114:115]            // 000000008350: D3B14072 1802E5A0
	v_pk_mul_f32 v[116:117], v[162:163], v[116:117]            // 000000008358: D3B14074 1802E9A2
	v_pk_mul_f32 v[118:119], v[162:163], v[118:119]            // 000000008360: D3B14076 1802EDA2
	v_pk_mul_f32 v[120:121], v[162:163], v[120:121]            // 000000008368: D3B14078 1802F1A2
	v_pk_mul_f32 v[122:123], v[162:163], v[122:123]            // 000000008370: D3B1407A 1802F5A2
	ds_read_b128 v[172:175], v253                              // 000000008378: D9FE0000 AC0000FD
	ds_read_b128 v[176:179], v253 offset:256                   // 000000008380: D9FE0100 B00000FD
	ds_read_b128 v[180:183], v253 offset:512                   // 000000008388: D9FE0200 B40000FD
	ds_read_b128 v[184:187], v253 offset:768                   // 000000008390: D9FE0300 B80000FD
	s_waitcnt lgkmcnt(0)                                       // 000000008398: BF8CC07F
	v_max3_f32 v188, v172, v176, v188                          // 00000000839C: D1D300BC 06F361AC
	v_max3_f32 v189, v173, v177, v189                          // 0000000083A4: D1D300BD 06F763AD
	v_max3_f32 v190, v174, v178, v190                          // 0000000083AC: D1D300BE 06FB65AE
	v_max3_f32 v188, v180, v184, v188                          // 0000000083B4: D1D300BC 06F371B4
	v_max3_f32 v189, v181, v185, v189                          // 0000000083BC: D1D300BD 06F773B5
	v_max3_f32 v190, v182, v186, v190                          // 0000000083C4: D1D300BE 06FB75B6
	v_max_f32_e32 v197, v188, v194                             // 0000000083CC: 178B85BC
	v_mul_f32_e64 v168, -s46, v197                             // 0000000083D0: D10500A8 20038A2E
	v_mov_b32_e32 v169, v168                                   // 0000000083D8: 7F5203A8
	v_pk_fma_f32 v[4:5], v[4:5], s[46:47], v[168:169]          // 0000000083DC: D3B04004 1EA05D04
	v_pk_fma_f32 v[6:7], v[6:7], s[46:47], v[168:169]          // 0000000083E4: D3B04006 1EA05D06
	v_exp_f32_e32 v4, v4                                       // 0000000083EC: 7E084104
	v_exp_f32_e32 v5, v5                                       // 0000000083F0: 7E0A4105
	v_exp_f32_e32 v6, v6                                       // 0000000083F4: 7E0C4106
	v_exp_f32_e32 v7, v7                                       // 0000000083F8: 7E0E4107
	v_pk_fma_f32 v[8:9], v[8:9], s[46:47], v[168:169]          // 0000000083FC: D3B04008 1EA05D08
	v_pk_fma_f32 v[10:11], v[10:11], s[46:47], v[168:169]      // 000000008404: D3B0400A 1EA05D0A
	v_exp_f32_e32 v8, v8                                       // 00000000840C: 7E104108
	v_exp_f32_e32 v9, v9                                       // 000000008410: 7E124109
	v_exp_f32_e32 v10, v10                                     // 000000008414: 7E14410A
	v_exp_f32_e32 v11, v11                                     // 000000008418: 7E16410B
	v_pk_fma_f32 v[12:13], v[12:13], s[46:47], v[168:169]      // 00000000841C: D3B0400C 1EA05D0C
	v_pk_fma_f32 v[14:15], v[14:15], s[46:47], v[168:169]      // 000000008424: D3B0400E 1EA05D0E
	v_exp_f32_e32 v12, v12                                     // 00000000842C: 7E18410C
	v_exp_f32_e32 v13, v13                                     // 000000008430: 7E1A410D
	v_exp_f32_e32 v14, v14                                     // 000000008434: 7E1C410E
	v_exp_f32_e32 v15, v15                                     // 000000008438: 7E1E410F
	v_pk_fma_f32 v[16:17], v[16:17], s[46:47], v[168:169]      // 00000000843C: D3B04010 1EA05D10
	v_pk_fma_f32 v[18:19], v[18:19], s[46:47], v[168:169]      // 000000008444: D3B04012 1EA05D12
	v_exp_f32_e32 v16, v16                                     // 00000000844C: 7E204110
	v_exp_f32_e32 v17, v17                                     // 000000008450: 7E224111
	v_exp_f32_e32 v18, v18                                     // 000000008454: 7E244112
	v_exp_f32_e32 v19, v19                                     // 000000008458: 7E264113
	v_max_f32_e32 v198, v189, v195                             // 00000000845C: 178D87BD
	v_mul_f32_e64 v168, -s46, v198                             // 000000008460: D10500A8 20038C2E
	v_mov_b32_e32 v169, v168                                   // 000000008468: 7F5203A8
	v_pk_fma_f32 v[20:21], v[20:21], s[46:47], v[168:169]      // 00000000846C: D3B04014 1EA05D14
	v_pk_fma_f32 v[22:23], v[22:23], s[46:47], v[168:169]      // 000000008474: D3B04016 1EA05D16
	v_exp_f32_e32 v20, v20                                     // 00000000847C: 7E284114
	v_exp_f32_e32 v21, v21                                     // 000000008480: 7E2A4115
	v_exp_f32_e32 v22, v22                                     // 000000008484: 7E2C4116
	v_exp_f32_e32 v23, v23                                     // 000000008488: 7E2E4117
	v_pk_fma_f32 v[24:25], v[24:25], s[46:47], v[168:169]      // 00000000848C: D3B04018 1EA05D18
	v_pk_fma_f32 v[26:27], v[26:27], s[46:47], v[168:169]      // 000000008494: D3B0401A 1EA05D1A
	v_exp_f32_e32 v24, v24                                     // 00000000849C: 7E304118
	v_exp_f32_e32 v25, v25                                     // 0000000084A0: 7E324119
	v_exp_f32_e32 v26, v26                                     // 0000000084A4: 7E34411A
	v_exp_f32_e32 v27, v27                                     // 0000000084A8: 7E36411B
	v_pk_fma_f32 v[28:29], v[28:29], s[46:47], v[168:169]      // 0000000084AC: D3B0401C 1EA05D1C
	v_pk_fma_f32 v[30:31], v[30:31], s[46:47], v[168:169]      // 0000000084B4: D3B0401E 1EA05D1E
	v_exp_f32_e32 v28, v28                                     // 0000000084BC: 7E38411C
	v_exp_f32_e32 v29, v29                                     // 0000000084C0: 7E3A411D
	v_exp_f32_e32 v30, v30                                     // 0000000084C4: 7E3C411E
	v_exp_f32_e32 v31, v31                                     // 0000000084C8: 7E3E411F
	v_pk_fma_f32 v[32:33], v[32:33], s[46:47], v[168:169]      // 0000000084CC: D3B04020 1EA05D20
	v_pk_fma_f32 v[34:35], v[34:35], s[46:47], v[168:169]      // 0000000084D4: D3B04022 1EA05D22
	v_exp_f32_e32 v32, v32                                     // 0000000084DC: 7E404120
	v_exp_f32_e32 v33, v33                                     // 0000000084E0: 7E424121
	v_exp_f32_e32 v34, v34                                     // 0000000084E4: 7E444122
	v_exp_f32_e32 v35, v35                                     // 0000000084E8: 7E464123
	v_max_f32_e32 v199, v190, v196                             // 0000000084EC: 178F89BE
	v_mul_f32_e64 v168, -s46, v199                             // 0000000084F0: D10500A8 20038E2E
	v_mov_b32_e32 v169, v168                                   // 0000000084F8: 7F5203A8
	v_pk_fma_f32 v[36:37], v[36:37], s[46:47], v[168:169]      // 0000000084FC: D3B04024 1EA05D24
	v_pk_fma_f32 v[38:39], v[38:39], s[46:47], v[168:169]      // 000000008504: D3B04026 1EA05D26
	v_exp_f32_e32 v36, v36                                     // 00000000850C: 7E484124
	v_exp_f32_e32 v37, v37                                     // 000000008510: 7E4A4125
	v_exp_f32_e32 v38, v38                                     // 000000008514: 7E4C4126
	v_exp_f32_e32 v39, v39                                     // 000000008518: 7E4E4127
	v_pk_fma_f32 v[40:41], v[40:41], s[46:47], v[168:169]      // 00000000851C: D3B04028 1EA05D28
	v_pk_fma_f32 v[42:43], v[42:43], s[46:47], v[168:169]      // 000000008524: D3B0402A 1EA05D2A
	v_exp_f32_e32 v40, v40                                     // 00000000852C: 7E504128
	v_exp_f32_e32 v41, v41                                     // 000000008530: 7E524129
	v_exp_f32_e32 v42, v42                                     // 000000008534: 7E54412A
	v_exp_f32_e32 v43, v43                                     // 000000008538: 7E56412B
	v_mul_f32_e32 v52, v157, v4                                // 00000000853C: 0A68099D
	v_mul_f32_e32 v53, v157, v5                                // 000000008540: 0A6A0B9D
	v_mul_f32_e32 v54, v157, v6                                // 000000008544: 0A6C0D9D
	v_mul_f32_e32 v55, v157, v7                                // 000000008548: 0A6E0F9D
	v_mul_f32_e32 v56, v157, v8                                // 00000000854C: 0A70119D
	v_mul_f32_e32 v57, v157, v9                                // 000000008550: 0A72139D
	v_mul_f32_e32 v58, v157, v10                               // 000000008554: 0A74159D
	v_mul_f32_e32 v59, v157, v11                               // 000000008558: 0A76179D
	v_mul_f32_e32 v60, v157, v12                               // 00000000855C: 0A78199D
	v_mul_f32_e32 v61, v157, v13                               // 000000008560: 0A7A1B9D
	v_mul_f32_e32 v62, v157, v14                               // 000000008564: 0A7C1D9D
	v_mul_f32_e32 v63, v157, v15                               // 000000008568: 0A7E1F9D
	v_mul_f32_e32 v64, v157, v16                               // 00000000856C: 0A80219D
	v_mul_f32_e32 v65, v157, v17                               // 000000008570: 0A82239D
	v_mul_f32_e32 v66, v157, v18                               // 000000008574: 0A84259D
	v_mul_f32_e32 v67, v157, v19                               // 000000008578: 0A86279D
	v_mul_f32_e32 v68, v157, v20                               // 00000000857C: 0A88299D
	v_mul_f32_e32 v69, v157, v21                               // 000000008580: 0A8A2B9D
	v_mul_f32_e32 v70, v157, v22                               // 000000008584: 0A8C2D9D
	v_mul_f32_e32 v71, v157, v23                               // 000000008588: 0A8E2F9D
	v_mul_f32_e32 v72, v157, v24                               // 00000000858C: 0A90319D
	v_mul_f32_e32 v73, v157, v25                               // 000000008590: 0A92339D
	v_mul_f32_e32 v74, v157, v26                               // 000000008594: 0A94359D
	v_mul_f32_e32 v75, v157, v27                               // 000000008598: 0A96379D
	v_mul_f32_e32 v76, v157, v28                               // 00000000859C: 0A98399D
	v_mul_f32_e32 v77, v157, v29                               // 0000000085A0: 0A9A3B9D
	v_mul_f32_e32 v78, v157, v30                               // 0000000085A4: 0A9C3D9D
	v_mul_f32_e32 v79, v157, v31                               // 0000000085A8: 0A9E3F9D
	v_mul_f32_e32 v80, v157, v32                               // 0000000085AC: 0AA0419D
	v_mul_f32_e32 v81, v157, v33                               // 0000000085B0: 0AA2439D
	v_mul_f32_e32 v82, v157, v34                               // 0000000085B4: 0AA4459D
	v_mul_f32_e32 v83, v157, v35                               // 0000000085B8: 0AA6479D
	v_mul_f32_e32 v84, v157, v36                               // 0000000085BC: 0AA8499D
	v_mul_f32_e32 v85, v157, v37                               // 0000000085C0: 0AAA4B9D
	v_mul_f32_e32 v86, v157, v38                               // 0000000085C4: 0AAC4D9D
	v_mul_f32_e32 v87, v157, v39                               // 0000000085C8: 0AAE4F9D
	v_mul_f32_e32 v88, v157, v40                               // 0000000085CC: 0AB0519D
	v_mul_f32_e32 v89, v157, v41                               // 0000000085D0: 0AB2539D
	v_mul_f32_e32 v90, v157, v42                               // 0000000085D4: 0AB4559D
	v_mul_f32_e32 v91, v157, v43                               // 0000000085D8: 0AB6579D
	buffer_load_dword v154, v238, s[20:23], 0 offen            // 0000000085DC: E0501000 80059AEE
	v_sub_f32_e32 v200, v194, v197                             // 0000000085E4: 05918BC2
	v_cmp_eq_u32_e64 s[98:99], v225, v194                      // 0000000085E8: D0CA0062 000385E1
	v_cndmask_b32_e64 v200, v200, 0, s[98:99]                  // 0000000085F0: D10000C8 018901C8
	v_mov_b32_e32 v194, v197                                   // 0000000085F8: 7F8403C5
	v_mul_f32_e32 v200, s46, v200                              // 0000000085FC: 0B91902E
	v_exp_f32_e32 v200, v200                                   // 000000008600: 7F9041C8
	v_sub_f32_e32 v202, v195, v198                             // 000000008604: 05958DC3
	v_cmp_eq_u32_e64 s[98:99], v225, v195                      // 000000008608: D0CA0062 000387E1
	v_cndmask_b32_e64 v202, v202, 0, s[98:99]                  // 000000008610: D10000CA 018901CA
	v_mov_b32_e32 v195, v198                                   // 000000008618: 7F8603C6
	v_mul_f32_e32 v202, s46, v202                              // 00000000861C: 0B95942E
	v_exp_f32_e32 v202, v202                                   // 000000008620: 7F9441CA
	v_sub_f32_e32 v204, v196, v199                             // 000000008624: 05998FC4
	v_cmp_eq_u32_e64 s[98:99], v225, v196                      // 000000008628: D0CA0062 000389E1
	v_cndmask_b32_e64 v204, v204, 0, s[98:99]                  // 000000008630: D10000CC 018901CC
	v_mov_b32_e32 v196, v199                                   // 000000008638: 7F8803C7
	v_mul_f32_e32 v204, s46, v204                              // 00000000863C: 0B99982E
	v_exp_f32_e32 v204, v204                                   // 000000008640: 7F9841CC
	v_mov_b32_e32 v201, v200                                   // 000000008644: 7F9203C8
	v_mov_b32_e32 v203, v202                                   // 000000008648: 7F9603CA
	v_mov_b32_e32 v205, v204                                   // 00000000864C: 7F9A03CC
	s_waitcnt lgkmcnt(0)                                       // 000000008650: BF8CC07F
	s_barrier                                                  // 000000008654: BF8A0000
	buffer_load_dword v156, v239, s[24:27], 0 offen            // 000000008658: E0501000 80069CEF
	v_mul_f32_e32 v206, v200, v206                             // 000000008660: 0B9D9DC8
	v_mov_b32_e32 v207, 0                                      // 000000008664: 7F9E0280
	v_pk_add_f32 v[206:207], v[4:5], v[206:207]                // 000000008668: D3B240CE 18039D04
	v_pk_add_f32 v[206:207], v[6:7], v[206:207]                // 000000008670: D3B240CE 18039D06
	v_pk_add_f32 v[206:207], v[8:9], v[206:207]                // 000000008678: D3B240CE 18039D08
	v_pk_add_f32 v[206:207], v[10:11], v[206:207]              // 000000008680: D3B240CE 18039D0A
	v_pk_add_f32 v[206:207], v[12:13], v[206:207]              // 000000008688: D3B240CE 18039D0C
	v_pk_add_f32 v[206:207], v[14:15], v[206:207]              // 000000008690: D3B240CE 18039D0E
	v_pk_add_f32 v[206:207], v[16:17], v[206:207]              // 000000008698: D3B240CE 18039D10
	v_pk_add_f32 v[206:207], v[18:19], v[206:207]              // 0000000086A0: D3B240CE 18039D12
	v_add_f32_e32 v206, v207, v206                             // 0000000086A8: 039D9DCF
	v_mul_f32_e32 v208, v202, v208                             // 0000000086AC: 0BA1A1CA
	v_mov_b32_e32 v209, 0                                      // 0000000086B0: 7FA20280
	v_pk_add_f32 v[208:209], v[20:21], v[208:209]              // 0000000086B4: D3B240D0 1803A114
	v_pk_add_f32 v[208:209], v[22:23], v[208:209]              // 0000000086BC: D3B240D0 1803A116
	v_pk_add_f32 v[208:209], v[24:25], v[208:209]              // 0000000086C4: D3B240D0 1803A118
	v_pk_add_f32 v[208:209], v[26:27], v[208:209]              // 0000000086CC: D3B240D0 1803A11A
	v_pk_add_f32 v[208:209], v[28:29], v[208:209]              // 0000000086D4: D3B240D0 1803A11C
	v_pk_add_f32 v[208:209], v[30:31], v[208:209]              // 0000000086DC: D3B240D0 1803A11E
	v_pk_add_f32 v[208:209], v[32:33], v[208:209]              // 0000000086E4: D3B240D0 1803A120
	v_pk_add_f32 v[208:209], v[34:35], v[208:209]              // 0000000086EC: D3B240D0 1803A122
	v_add_f32_e32 v208, v209, v208                             // 0000000086F4: 03A1A1D1
	v_mul_f32_e32 v210, v204, v210                             // 0000000086F8: 0BA5A5CC
	v_mov_b32_e32 v211, 0                                      // 0000000086FC: 7FA60280
	v_pk_add_f32 v[210:211], v[36:37], v[210:211]              // 000000008700: D3B240D2 1803A524
	v_pk_add_f32 v[210:211], v[38:39], v[210:211]              // 000000008708: D3B240D2 1803A526
	v_pk_add_f32 v[210:211], v[40:41], v[210:211]              // 000000008710: D3B240D2 1803A528
	v_pk_add_f32 v[210:211], v[42:43], v[210:211]              // 000000008718: D3B240D2 1803A52A
	v_add_f32_e32 v210, v211, v210                             // 000000008720: 03A5A5D3
	s_waitcnt lgkmcnt(0)                                       // 000000008724: BF8CC07F
	v_sub_f32_e32 v188, v188, v194                             // 000000008728: 057985BC
	v_sub_f32_e32 v189, v189, v195                             // 00000000872C: 057B87BD
	v_sub_f32_e32 v190, v190, v196                             // 000000008730: 057D89BE
	v_mul_f32_e32 v188, s46, v188                              // 000000008734: 0B79782E
	v_mul_f32_e32 v189, s46, v189                              // 000000008738: 0B7B7A2E
	v_mul_f32_e32 v190, s46, v190                              // 00000000873C: 0B7D7C2E
	v_exp_f32_e32 v188, v188                                   // 000000008740: 7F7841BC
	v_exp_f32_e32 v189, v189                                   // 000000008744: 7F7A41BD
	v_exp_f32_e32 v190, v190                                   // 000000008748: 7F7C41BE
	v_mul_f32_e32 v188, v157, v188                             // 00000000874C: 0B79799D
	v_mul_f32_e32 v189, v157, v189                             // 000000008750: 0B7B7B9D
	v_mul_f32_e32 v190, v157, v190                             // 000000008754: 0B7D7D9D
	v_add_f32_e32 v188, 0x3089705f, v188                       // 000000008758: 037978FF 3089705F
	v_add_f32_e32 v189, 0x3089705f, v189                       // 000000008760: 037B7AFF 3089705F
	v_add_f32_e32 v190, 0x3089705f, v190                       // 000000008768: 037D7CFF 3089705F
	v_rcp_f32_e32 v188, v188                                   // 000000008770: 7F7845BC
	v_rcp_f32_e32 v189, v189                                   // 000000008774: 7F7A45BD
	v_rcp_f32_e32 v190, v190                                   // 000000008778: 7F7C45BE
	v_mul_f32_e32 v188, 0x43700000, v188                       // 00000000877C: 0B7978FF 43700000
	v_mul_f32_e32 v189, 0x43700000, v189                       // 000000008784: 0B7B7AFF 43700000
	v_mul_f32_e32 v190, 0x43700000, v190                       // 00000000878C: 0B7D7CFF 43700000
	v_mov_b32_e32 v192, v190                                   // 000000008794: 7F8003BE
	v_mov_b32_e32 v193, v190                                   // 000000008798: 7F8203BE
	v_mov_b32_e32 v190, v189                                   // 00000000879C: 7F7C03BD
	v_mov_b32_e32 v191, v189                                   // 0000000087A0: 7F7E03BD
	v_mov_b32_e32 v189, v188                                   // 0000000087A4: 7F7A03BC
	v_pk_mul_f32 v[4:5], v[188:189], v[52:53]                  // 0000000087A8: D3B14004 180269BC
	v_pk_mul_f32 v[6:7], v[188:189], v[54:55]                  // 0000000087B0: D3B14006 18026DBC
	v_pk_mul_f32 v[8:9], v[188:189], v[56:57]                  // 0000000087B8: D3B14008 180271BC
	v_pk_mul_f32 v[10:11], v[188:189], v[58:59]                // 0000000087C0: D3B1400A 180275BC
	v_pk_mul_f32 v[12:13], v[188:189], v[60:61]                // 0000000087C8: D3B1400C 180279BC
	v_pk_mul_f32 v[14:15], v[188:189], v[62:63]                // 0000000087D0: D3B1400E 18027DBC
	v_pk_mul_f32 v[16:17], v[188:189], v[64:65]                // 0000000087D8: D3B14010 180281BC
	v_pk_mul_f32 v[18:19], v[188:189], v[66:67]                // 0000000087E0: D3B14012 180285BC
	v_pk_mul_f32 v[20:21], v[190:191], v[68:69]                // 0000000087E8: D3B14014 180289BE
	v_pk_mul_f32 v[22:23], v[190:191], v[70:71]                // 0000000087F0: D3B14016 18028DBE
	v_pk_mul_f32 v[24:25], v[190:191], v[72:73]                // 0000000087F8: D3B14018 180291BE
	v_pk_mul_f32 v[26:27], v[190:191], v[74:75]                // 000000008800: D3B1401A 180295BE
	v_pk_mul_f32 v[28:29], v[190:191], v[76:77]                // 000000008808: D3B1401C 180299BE
	v_pk_mul_f32 v[30:31], v[190:191], v[78:79]                // 000000008810: D3B1401E 18029DBE
	v_pk_mul_f32 v[32:33], v[190:191], v[80:81]                // 000000008818: D3B14020 1802A1BE
	v_pk_mul_f32 v[34:35], v[190:191], v[82:83]                // 000000008820: D3B14022 1802A5BE
	v_pk_mul_f32 v[36:37], v[192:193], v[84:85]                // 000000008828: D3B14024 1802A9C0
	v_pk_mul_f32 v[38:39], v[192:193], v[86:87]                // 000000008830: D3B14026 1802ADC0
	v_pk_mul_f32 v[40:41], v[192:193], v[88:89]                // 000000008838: D3B14028 1802B1C0
	v_pk_mul_f32 v[42:43], v[192:193], v[90:91]                // 000000008840: D3B1402A 1802B5C0
	v_cvt_pk_fp8_f32 v4, v4, v5                                // 000000008848: D2A20004 00020B04
	v_cvt_pk_fp8_f32 v4, v6, v7 op_sel:[0,0,1]                 // 000000008850: D2A24004 00020F06
	v_cvt_pk_fp8_f32 v5, v8, v9                                // 000000008858: D2A20005 00021308
	v_cvt_pk_fp8_f32 v5, v10, v11 op_sel:[0,0,1]               // 000000008860: D2A24005 0002170A
	v_cvt_pk_fp8_f32 v6, v12, v13                              // 000000008868: D2A20006 00021B0C
	v_cvt_pk_fp8_f32 v6, v14, v15 op_sel:[0,0,1]               // 000000008870: D2A24006 00021F0E
	v_cvt_pk_fp8_f32 v7, v16, v17                              // 000000008878: D2A20007 00022310
	v_cvt_pk_fp8_f32 v7, v18, v19 op_sel:[0,0,1]               // 000000008880: D2A24007 00022712
	v_cvt_pk_fp8_f32 v8, v20, v21                              // 000000008888: D2A20008 00022B14
	v_cvt_pk_fp8_f32 v8, v22, v23 op_sel:[0,0,1]               // 000000008890: D2A24008 00022F16
	v_cvt_pk_fp8_f32 v9, v24, v25                              // 000000008898: D2A20009 00023318
	v_cvt_pk_fp8_f32 v9, v26, v27 op_sel:[0,0,1]               // 0000000088A0: D2A24009 0002371A
	v_cvt_pk_fp8_f32 v10, v28, v29                             // 0000000088A8: D2A2000A 00023B1C
	v_cvt_pk_fp8_f32 v10, v30, v31 op_sel:[0,0,1]              // 0000000088B0: D2A2400A 00023F1E
	v_cvt_pk_fp8_f32 v11, v32, v33                             // 0000000088B8: D2A2000B 00024320
	v_cvt_pk_fp8_f32 v11, v34, v35 op_sel:[0,0,1]              // 0000000088C0: D2A2400B 00024722
	v_cvt_pk_fp8_f32 v12, v36, v37                             // 0000000088C8: D2A2000C 00024B24
	v_cvt_pk_fp8_f32 v12, v38, v39 op_sel:[0,0,1]              // 0000000088D0: D2A2400C 00024F26
	v_cvt_pk_fp8_f32 v13, v40, v41                             // 0000000088D8: D2A2000D 00025328
	v_cvt_pk_fp8_f32 v13, v42, v43 op_sel:[0,0,1]              // 0000000088E0: D2A2400D 0002572A
	v_mov_b32_dpp v14, v12 row_shl:8 row_mask:0xf bank_mask:0xf bound_ctrl:1// 0000000088E8: 7E1C02FA FF09080C
	v_and_b32_e32 v12, v12, v224                               // 0000000088F0: 2619C10C
	v_mov_b32_dpp v15, v13 row_shl:8 row_mask:0xf bank_mask:0xf bound_ctrl:1// 0000000088F4: 7E1E02FA FF09080D
	v_and_b32_e32 v13, v13, v224                               // 0000000088FC: 261BC10D
	ds_write_b32 v254, v4 offset:8192                          // 000000008900: D81A2000 000004FE
	ds_write_b32 v254, v5 offset:9216                          // 000000008908: D81A2400 000005FE
	ds_write_b32 v254, v6 offset:10240                         // 000000008910: D81A2800 000006FE
	ds_write_b32 v254, v7 offset:11264                         // 000000008918: D81A2C00 000007FE
	ds_write_b32 v254, v8 offset:12288                         // 000000008920: D81A3000 000008FE
	ds_write_b32 v254, v9 offset:13312                         // 000000008928: D81A3400 000009FE
	ds_write_b32 v254, v10 offset:14336                        // 000000008930: D81A3800 00000AFE
	ds_write_b32 v254, v11 offset:15360                        // 000000008938: D81A3C00 00000BFE
	ds_write_b32 v254, v12 offset:16384                        // 000000008940: D81A4000 00000CFE
	ds_write_b32 v254, v13 offset:17408                        // 000000008948: D81A4400 00000DFE
	ds_write_b32 v254, v14 offset:18432                        // 000000008950: D81A4800 00000EFE
	ds_write_b32 v254, v15 offset:19456                        // 000000008958: D81A4C00 00000FFE
	v_rcp_f32_e32 v158, v188                                   // 000000008960: 7F3C45BC
	v_rcp_f32_e32 v160, v190                                   // 000000008964: 7F4045BE
	v_rcp_f32_e32 v162, v192                                   // 000000008968: 7F4445C0
	v_mov_b32_e32 v159, v158                                   // 00000000896C: 7F3E039E
	v_mov_b32_e32 v161, v160                                   // 000000008970: 7F4203A0
	v_mov_b32_e32 v163, v162                                   // 000000008974: 7F4603A2
	v_pk_add_f32 v[124:125], v[124:125], v[100:101]            // 000000008978: D3B2407C 1802C97C
	v_pk_add_f32 v[126:127], v[126:127], v[102:103]            // 000000008980: D3B2407E 1802CD7E
	v_pk_add_f32 v[128:129], v[128:129], v[104:105]            // 000000008988: D3B24080 1802D180
	v_pk_add_f32 v[130:131], v[130:131], v[106:107]            // 000000008990: D3B24082 1802D582
	v_pk_add_f32 v[132:133], v[132:133], v[108:109]            // 000000008998: D3B24084 1802D984
	v_pk_add_f32 v[134:135], v[134:135], v[110:111]            // 0000000089A0: D3B24086 1802DD86
	v_pk_add_f32 v[136:137], v[136:137], v[112:113]            // 0000000089A8: D3B24088 1802E188
	v_pk_add_f32 v[138:139], v[138:139], v[114:115]            // 0000000089B0: D3B2408A 1802E58A
	v_pk_add_f32 v[140:141], v[140:141], v[116:117]            // 0000000089B8: D3B2408C 1802E98C
	v_pk_add_f32 v[142:143], v[142:143], v[118:119]            // 0000000089C0: D3B2408E 1802ED8E
	v_pk_add_f32 v[144:145], v[144:145], v[120:121]            // 0000000089C8: D3B24090 1802F190
	v_pk_add_f32 v[146:147], v[146:147], v[122:123]            // 0000000089D0: D3B24092 1802F592
	s_waitcnt lgkmcnt(0)                                       // 0000000089D8: BF8CC07F
	s_barrier                                                  // 0000000089DC: BF8A0000
	ds_read_b128 v[4:7], v255 offset:8192                      // 0000000089E0: D9FE2000 040000FF
	ds_read_b128 v[8:11], v255 offset:9216                     // 0000000089E8: D9FE2400 080000FF
	ds_read_b128 v[12:15], v255 offset:10240                   // 0000000089F0: D9FE2800 0C0000FF
	ds_read_b128 v[16:19], v255 offset:11264                   // 0000000089F8: D9FE2C00 100000FF
	ds_read_b128 v[20:23], v255 offset:12288                   // 000000008A00: D9FE3000 140000FF
	ds_read_b128 v[24:27], v255 offset:13312                   // 000000008A08: D9FE3400 180000FF
	ds_read_b128 v[28:31], v255 offset:14336                   // 000000008A10: D9FE3800 1C0000FF
	ds_read_b128 v[32:35], v255 offset:15360                   // 000000008A18: D9FE3C00 200000FF
	ds_read_b128 v[36:39], v255 offset:16384                   // 000000008A20: D9FE4000 240000FF
	ds_read_b128 v[40:43], v255 offset:17408                   // 000000008A28: D9FE4400 280000FF
	ds_read_b128 v[44:47], v255 offset:18432                   // 000000008A30: D9FE4800 2C0000FF
	ds_read_b128 v[48:51], v255 offset:19456                   // 000000008A38: D9FE4C00 300000FF
	s_waitcnt vmcnt(10)                                        // 000000008A40: BF8C0F7A
	s_waitcnt lgkmcnt(11)                                      // 000000008A44: BF8CCB7F
	v_mfma_f32_16x16x32_fp8_fp8 v[100:103], a[120:121], v[4:5], 0// 000000008A48: D3F30064 0A020978
	v_mfma_f32_16x16x32_fp8_fp8 v[104:107], a[136:137], v[4:5], 0// 000000008A50: D3F30068 0A020988
	v_mfma_f32_16x16x32_fp8_fp8 v[100:103], a[122:123], v[6:7], v[100:103]// 000000008A58: D3F30064 0D920D7A
	buffer_load_dwordx4 a[88:91], v234, s[16:19], 0 offen      // 000000008A60: E05C1000 808458EA
	v_mfma_f32_16x16x32_fp8_fp8 v[104:107], a[138:139], v[6:7], v[104:107]// 000000008A68: D3F30068 0DA20D8A
	s_waitcnt lgkmcnt(10)                                      // 000000008A70: BF8CCA7F
	v_mfma_f32_16x16x32_fp8_fp8 v[100:103], a[124:125], v[8:9], v[100:103]// 000000008A74: D3F30064 0D92117C
	v_mfma_f32_16x16x32_fp8_fp8 v[104:107], a[140:141], v[8:9], v[104:107]// 000000008A7C: D3F30068 0DA2118C
	v_mfma_f32_16x16x32_fp8_fp8 v[100:103], a[126:127], v[10:11], v[100:103]// 000000008A84: D3F30064 0D92157E
	buffer_load_dwordx4 a[92:95], v235, s[16:19], 0 offen      // 000000008A8C: E05C1000 80845CEB
	v_mfma_f32_16x16x32_fp8_fp8 v[104:107], a[142:143], v[10:11], v[104:107]// 000000008A94: D3F30068 0DA2158E
	s_waitcnt lgkmcnt(9)                                       // 000000008A9C: BF8CC97F
	v_mfma_f32_16x16x32_fp8_fp8 v[100:103], a[128:129], v[12:13], v[100:103]// 000000008AA0: D3F30064 0D921980
	v_mfma_f32_16x16x32_fp8_fp8 v[104:107], a[144:145], v[12:13], v[104:107]// 000000008AA8: D3F30068 0DA21990
	v_mfma_f32_16x16x32_fp8_fp8 v[100:103], a[130:131], v[14:15], v[100:103]// 000000008AB0: D3F30064 0D921D82
	buffer_load_dwordx4 a[96:99], v236, s[16:19], 0 offen      // 000000008AB8: E05C1000 808460EC
	v_mfma_f32_16x16x32_fp8_fp8 v[104:107], a[146:147], v[14:15], v[104:107]// 000000008AC0: D3F30068 0DA21D92
	s_waitcnt lgkmcnt(8)                                       // 000000008AC8: BF8CC87F
	v_mfma_f32_16x16x32_fp8_fp8 v[100:103], a[132:133], v[16:17], v[100:103]// 000000008ACC: D3F30064 0D922184
	v_mfma_f32_16x16x32_fp8_fp8 v[104:107], a[148:149], v[16:17], v[104:107]// 000000008AD4: D3F30068 0DA22194
	v_mfma_f32_16x16x32_fp8_fp8 v[100:103], a[134:135], v[18:19], v[100:103]// 000000008ADC: D3F30064 0D922586
	buffer_load_dwordx4 a[100:103], v237, s[16:19], 0 offen    // 000000008AE4: E05C1000 808464ED
	v_mfma_f32_16x16x32_fp8_fp8 v[104:107], a[150:151], v[18:19], v[104:107]// 000000008AEC: D3F30068 0DA22596
	s_waitcnt lgkmcnt(7)                                       // 000000008AF4: BF8CC77F
	v_mfma_f32_16x16x32_fp8_fp8 v[108:111], a[120:121], v[20:21], 0// 000000008AF8: D3F3006C 0A022978
	v_mfma_f32_16x16x32_fp8_fp8 v[112:115], a[136:137], v[20:21], 0// 000000008B00: D3F30070 0A022988
	v_mfma_f32_16x16x32_fp8_fp8 v[108:111], a[122:123], v[22:23], v[108:111]// 000000008B08: D3F3006C 0DB22D7A
	buffer_load_dwordx4 a[104:107], v234, s[16:19], 0 offen offset:1024// 000000008B10: E05C1400 808468EA
	v_mfma_f32_16x16x32_fp8_fp8 v[112:115], a[138:139], v[22:23], v[112:115]// 000000008B18: D3F30070 0DC22D8A
	s_waitcnt lgkmcnt(6)                                       // 000000008B20: BF8CC67F
	v_mfma_f32_16x16x32_fp8_fp8 v[108:111], a[124:125], v[24:25], v[108:111]// 000000008B24: D3F3006C 0DB2317C
	v_mfma_f32_16x16x32_fp8_fp8 v[112:115], a[140:141], v[24:25], v[112:115]// 000000008B2C: D3F30070 0DC2318C
	v_mfma_f32_16x16x32_fp8_fp8 v[108:111], a[126:127], v[26:27], v[108:111]// 000000008B34: D3F3006C 0DB2357E
	buffer_load_dwordx4 a[108:111], v235, s[16:19], 0 offen offset:1024// 000000008B3C: E05C1400 80846CEB
	v_mfma_f32_16x16x32_fp8_fp8 v[112:115], a[142:143], v[26:27], v[112:115]// 000000008B44: D3F30070 0DC2358E
	s_waitcnt lgkmcnt(5)                                       // 000000008B4C: BF8CC57F
	v_mfma_f32_16x16x32_fp8_fp8 v[108:111], a[128:129], v[28:29], v[108:111]// 000000008B50: D3F3006C 0DB23980
	v_mfma_f32_16x16x32_fp8_fp8 v[112:115], a[144:145], v[28:29], v[112:115]// 000000008B58: D3F30070 0DC23990
	v_mfma_f32_16x16x32_fp8_fp8 v[108:111], a[130:131], v[30:31], v[108:111]// 000000008B60: D3F3006C 0DB23D82
	buffer_load_dwordx4 a[112:115], v236, s[16:19], 0 offen offset:1024// 000000008B68: E05C1400 808470EC
	v_mfma_f32_16x16x32_fp8_fp8 v[112:115], a[146:147], v[30:31], v[112:115]// 000000008B70: D3F30070 0DC23D92
	s_waitcnt lgkmcnt(4)                                       // 000000008B78: BF8CC47F
	v_mfma_f32_16x16x32_fp8_fp8 v[108:111], a[132:133], v[32:33], v[108:111]// 000000008B7C: D3F3006C 0DB24184
	v_mfma_f32_16x16x32_fp8_fp8 v[112:115], a[148:149], v[32:33], v[112:115]// 000000008B84: D3F30070 0DC24194
	v_mfma_f32_16x16x32_fp8_fp8 v[108:111], a[134:135], v[34:35], v[108:111]// 000000008B8C: D3F3006C 0DB24586
	buffer_load_dwordx4 a[116:119], v237, s[16:19], 0 offen offset:1024// 000000008B94: E05C1400 808474ED
	v_mfma_f32_16x16x32_fp8_fp8 v[112:115], a[150:151], v[34:35], v[112:115]// 000000008B9C: D3F30070 0DC24596
	s_waitcnt lgkmcnt(3)                                       // 000000008BA4: BF8CC37F
	v_mfma_f32_16x16x32_fp8_fp8 v[116:119], a[120:121], v[36:37], 0// 000000008BA8: D3F30074 0A024978
	v_mfma_f32_16x16x32_fp8_fp8 v[120:123], a[136:137], v[36:37], 0// 000000008BB0: D3F30078 0A024988
	v_mfma_f32_16x16x32_fp8_fp8 v[116:119], a[122:123], v[38:39], v[116:119]// 000000008BB8: D3F30074 0DD24D7A
	v_mfma_f32_16x16x32_fp8_fp8 v[120:123], a[138:139], v[38:39], v[120:123]// 000000008BC0: D3F30078 0DE24D8A
	s_waitcnt lgkmcnt(2)                                       // 000000008BC8: BF8CC27F
	v_mfma_f32_16x16x32_fp8_fp8 v[116:119], a[124:125], v[40:41], v[116:119]// 000000008BCC: D3F30074 0DD2517C
	v_mfma_f32_16x16x32_fp8_fp8 v[120:123], a[140:141], v[40:41], v[120:123]// 000000008BD4: D3F30078 0DE2518C
	v_mfma_f32_16x16x32_fp8_fp8 v[116:119], a[126:127], v[42:43], v[116:119]// 000000008BDC: D3F30074 0DD2557E
	v_mfma_f32_16x16x32_fp8_fp8 v[120:123], a[142:143], v[42:43], v[120:123]// 000000008BE4: D3F30078 0DE2558E
	s_waitcnt lgkmcnt(1)                                       // 000000008BEC: BF8CC17F
	v_mfma_f32_16x16x32_fp8_fp8 v[116:119], a[128:129], v[44:45], v[116:119]// 000000008BF0: D3F30074 0DD25980
	v_mfma_f32_16x16x32_fp8_fp8 v[120:123], a[144:145], v[44:45], v[120:123]// 000000008BF8: D3F30078 0DE25990
	v_mfma_f32_16x16x32_fp8_fp8 v[116:119], a[130:131], v[46:47], v[116:119]// 000000008C00: D3F30074 0DD25D82
	v_mfma_f32_16x16x32_fp8_fp8 v[120:123], a[146:147], v[46:47], v[120:123]// 000000008C08: D3F30078 0DE25D92
	s_waitcnt lgkmcnt(0)                                       // 000000008C10: BF8CC07F
	v_mfma_f32_16x16x32_fp8_fp8 v[116:119], a[132:133], v[48:49], v[116:119]// 000000008C14: D3F30074 0DD26184
	v_mfma_f32_16x16x32_fp8_fp8 v[120:123], a[148:149], v[48:49], v[120:123]// 000000008C1C: D3F30078 0DE26194
	v_mfma_f32_16x16x32_fp8_fp8 v[116:119], a[134:135], v[50:51], v[116:119]// 000000008C24: D3F30074 0DD26586
	v_mfma_f32_16x16x32_fp8_fp8 v[120:123], a[150:151], v[50:51], v[120:123]// 000000008C2C: D3F30078 0DE26596
	s_addk_i32 s64, 0x100                                      // 000000008C34: B7400100
	s_cmp_lt_i32 s64, s63                                      // 000000008C38: BF043F40
	s_cbranch_scc0 label_2E22                                  // 000000008C3C: BF841492
	s_waitcnt vmcnt(10)                                        // 000000008C40: BF8C0F7A
	v_mfma_f32_16x16x32_fp8_fp8 v[4:7], a[24:25], a[0:1], 0    // 000000008C44: D3F30004 1A020118
	s_add_u32 s12, s86, s69                                    // 000000008C4C: 800C4556
	s_addc_u32 s13, s87, 0                                     // 000000008C50: 820D8057
	v_mfma_f32_16x16x32_fp8_fp8 v[4:7], a[26:27], a[2:3], v[4:7]// 000000008C54: D3F30004 1C12051A
	s_add_u32 s16, s88, s70                                    // 000000008C5C: 80104658
	s_addc_u32 s17, s89, 0                                     // 000000008C60: 82118059
	v_mfma_f32_16x16x32_fp8_fp8 v[4:7], a[28:29], a[4:5], v[4:7]// 000000008C64: D3F30004 1C12091C
	buffer_load_dwordx4 a[56:59], v232, s[12:15], 0 offen      // 000000008C6C: E05C1000 808338E8
	v_mfma_f32_16x16x32_fp8_fp8 v[4:7], a[30:31], a[6:7], v[4:7]// 000000008C74: D3F30004 1C120D1E
	s_add_u32 s20, s90, s71                                    // 000000008C7C: 8014475A
	s_addc_u32 s21, s91, 0                                     // 000000008C80: 8215805B
	v_mfma_f32_16x16x32_fp8_fp8 v[8:11], a[32:33], a[0:1], 0   // 000000008C84: D3F30008 1A020120
	s_add_u32 s24, s92, s71                                    // 000000008C8C: 8018475C
	s_addc_u32 s25, s93, 0                                     // 000000008C90: 8219805D
	v_mfma_f32_16x16x32_fp8_fp8 v[8:11], a[34:35], a[2:3], v[8:11]// 000000008C94: D3F30008 1C220522
	s_mul_i32 s69, s59, s50                                    // 000000008C9C: 9245323B
	s_mul_i32 s71, s59, s66                                    // 000000008CA0: 9247423B
	v_mfma_f32_16x16x32_fp8_fp8 v[8:11], a[36:37], a[4:5], v[8:11]// 000000008CA4: D3F30008 1C220924
	buffer_load_dwordx4 a[60:63], v233, s[12:15], 0 offen      // 000000008CAC: E05C1000 80833CE9
	v_mfma_f32_16x16x32_fp8_fp8 v[8:11], a[38:39], a[6:7], v[8:11]// 000000008CB4: D3F30008 1C220D26
	s_mul_i32 s54, s78, s51                                    // 000000008CBC: 9236334E
	s_add_u32 s69, s69, s54                                    // 000000008CC0: 80453645
	v_mfma_f32_16x16x32_fp8_fp8 v[12:15], a[40:41], a[0:1], 0  // 000000008CC4: D3F3000C 1A020128
	s_mov_b32 s70, s69                                         // 000000008CCC: BEC60045
	v_mfma_f32_16x16x32_fp8_fp8 v[12:15], a[42:43], a[2:3], v[12:15]// 000000008CD0: D3F3000C 1C32052A
	s_mul_i32 s54, s78, 4                                      // 000000008CD8: 9236844E
	s_add_u32 s71, s71, s54                                    // 000000008CDC: 80473647
	v_mfma_f32_16x16x32_fp8_fp8 v[12:15], a[44:45], a[4:5], v[12:15]// 000000008CE0: D3F3000C 1C32092C
	buffer_load_dwordx4 a[64:67], v232, s[12:15], 0 offen offset:1024// 000000008CE8: E05C1400 808340E8
	v_mfma_f32_16x16x32_fp8_fp8 v[12:15], a[46:47], a[6:7], v[12:15]// 000000008CF0: D3F3000C 1C320D2E
	v_mfma_f32_16x16x32_fp8_fp8 v[16:19], a[48:49], a[0:1], 0  // 000000008CF8: D3F30010 1A020130
	v_mfma_f32_16x16x32_fp8_fp8 v[16:19], a[50:51], a[2:3], v[16:19]// 000000008D00: D3F30010 1C420532
	v_mfma_f32_16x16x32_fp8_fp8 v[16:19], a[52:53], a[4:5], v[16:19]// 000000008D08: D3F30010 1C420934
	buffer_load_dwordx4 a[68:71], v233, s[12:15], 0 offen offset:1024// 000000008D10: E05C1400 808344E9
	v_mfma_f32_16x16x32_fp8_fp8 v[16:19], a[54:55], a[6:7], v[16:19]// 000000008D18: D3F30010 1C420D36
	v_mfma_f32_16x16x32_fp8_fp8 v[20:23], a[24:25], a[8:9], 0  // 000000008D20: D3F30014 1A021118
	v_mfma_f32_16x16x32_fp8_fp8 v[20:23], a[26:27], a[10:11], v[20:23]// 000000008D28: D3F30014 1C52151A
	v_mfma_f32_16x16x32_fp8_fp8 v[20:23], a[28:29], a[12:13], v[20:23]// 000000008D30: D3F30014 1C52191C
	buffer_load_dwordx4 a[72:75], v232, s[12:15], 0 offen offset:2048// 000000008D38: E05C1800 808348E8
	v_mfma_f32_16x16x32_fp8_fp8 v[20:23], a[30:31], a[14:15], v[20:23]// 000000008D40: D3F30014 1C521D1E
	v_mfma_f32_16x16x32_fp8_fp8 v[24:27], a[32:33], a[8:9], 0  // 000000008D48: D3F30018 1A021120
	v_mfma_f32_16x16x32_fp8_fp8 v[24:27], a[34:35], a[10:11], v[24:27]// 000000008D50: D3F30018 1C621522
	v_mfma_f32_16x16x32_fp8_fp8 v[24:27], a[36:37], a[12:13], v[24:27]// 000000008D58: D3F30018 1C621924
	buffer_load_dwordx4 a[76:79], v233, s[12:15], 0 offen offset:2048// 000000008D60: E05C1800 80834CE9
	v_mfma_f32_16x16x32_fp8_fp8 v[24:27], a[38:39], a[14:15], v[24:27]// 000000008D68: D3F30018 1C621D26
	v_mfma_f32_16x16x32_fp8_fp8 v[28:31], a[40:41], a[8:9], 0  // 000000008D70: D3F3001C 1A021128
	v_mfma_f32_16x16x32_fp8_fp8 v[28:31], a[42:43], a[10:11], v[28:31]// 000000008D78: D3F3001C 1C72152A
	v_mfma_f32_16x16x32_fp8_fp8 v[28:31], a[44:45], a[12:13], v[28:31]// 000000008D80: D3F3001C 1C72192C
	buffer_load_dwordx4 a[80:83], v232, s[12:15], 0 offen offset:3072// 000000008D88: E05C1C00 808350E8
	v_mfma_f32_16x16x32_fp8_fp8 v[28:31], a[46:47], a[14:15], v[28:31]// 000000008D90: D3F3001C 1C721D2E
	v_mfma_f32_16x16x32_fp8_fp8 v[32:35], a[48:49], a[8:9], 0  // 000000008D98: D3F30020 1A021130
	v_mfma_f32_16x16x32_fp8_fp8 v[32:35], a[50:51], a[10:11], v[32:35]// 000000008DA0: D3F30020 1C821532
	v_mfma_f32_16x16x32_fp8_fp8 v[32:35], a[52:53], a[12:13], v[32:35]// 000000008DA8: D3F30020 1C821934
	buffer_load_dwordx4 a[84:87], v233, s[12:15], 0 offen offset:3072// 000000008DB0: E05C1C00 808354E9
	v_mfma_f32_16x16x32_fp8_fp8 v[32:35], a[54:55], a[14:15], v[32:35]// 000000008DB8: D3F30020 1C821D36
	v_mfma_f32_16x16x32_fp8_fp8 v[36:39], a[24:25], a[16:17], 0// 000000008DC0: D3F30024 1A022118
	v_mfma_f32_16x16x32_fp8_fp8 v[36:39], a[26:27], a[18:19], v[36:39]// 000000008DC8: D3F30024 1C92251A
	v_mfma_f32_16x16x32_fp8_fp8 v[36:39], a[28:29], a[20:21], v[36:39]// 000000008DD0: D3F30024 1C92291C
	v_mfma_f32_16x16x32_fp8_fp8 v[36:39], a[30:31], a[22:23], v[36:39]// 000000008DD8: D3F30024 1C922D1E
	v_mfma_f32_16x16x32_fp8_fp8 v[40:43], a[32:33], a[16:17], 0// 000000008DE0: D3F30028 1A022120
	v_mfma_f32_16x16x32_fp8_fp8 v[40:43], a[34:35], a[18:19], v[40:43]// 000000008DE8: D3F30028 1CA22522
	v_mfma_f32_16x16x32_fp8_fp8 v[40:43], a[36:37], a[20:21], v[40:43]// 000000008DF0: D3F30028 1CA22924
	v_mfma_f32_16x16x32_fp8_fp8 v[40:43], a[38:39], a[22:23], v[40:43]// 000000008DF8: D3F30028 1CA22D26
	v_mfma_f32_16x16x32_fp8_fp8 v[44:47], a[40:41], a[16:17], 0// 000000008E00: D3F3002C 1A022128
	v_mfma_f32_16x16x32_fp8_fp8 v[44:47], a[42:43], a[18:19], v[44:47]// 000000008E08: D3F3002C 1CB2252A
	v_mfma_f32_16x16x32_fp8_fp8 v[44:47], a[44:45], a[20:21], v[44:47]// 000000008E10: D3F3002C 1CB2292C
	v_mfma_f32_16x16x32_fp8_fp8 v[44:47], a[46:47], a[22:23], v[44:47]// 000000008E18: D3F3002C 1CB22D2E
	v_mfma_f32_16x16x32_fp8_fp8 v[48:51], a[48:49], a[16:17], 0// 000000008E20: D3F30030 1A022130
	v_mfma_f32_16x16x32_fp8_fp8 v[48:51], a[50:51], a[18:19], v[48:51]// 000000008E28: D3F30030 1CC22532
	v_mfma_f32_16x16x32_fp8_fp8 v[48:51], a[52:53], a[20:21], v[48:51]// 000000008E30: D3F30030 1CC22934
	v_mfma_f32_16x16x32_fp8_fp8 v[48:51], a[54:55], a[22:23], v[48:51]// 000000008E38: D3F30030 1CC22D36
	s_waitcnt vmcnt(16)                                        // 000000008E40: BF8C4F70
	v_or_b32_dpp v36, v44, v36 row_shr:8 row_mask:0xf bank_mask:0xf bound_ctrl:1// 000000008E44: 284848FA FF09182C
	v_or_b32_dpp v37, v45, v37 row_shr:8 row_mask:0xf bank_mask:0xf bound_ctrl:1// 000000008E4C: 284A4AFA FF09182D
	v_or_b32_dpp v38, v46, v38 row_shr:8 row_mask:0xf bank_mask:0xf bound_ctrl:1// 000000008E54: 284C4CFA FF09182E
	v_or_b32_dpp v39, v47, v39 row_shr:8 row_mask:0xf bank_mask:0xf bound_ctrl:1// 000000008E5C: 284E4EFA FF09182F
	v_or_b32_dpp v40, v48, v40 row_shr:8 row_mask:0xf bank_mask:0xf bound_ctrl:1// 000000008E64: 285050FA FF091830
	v_or_b32_dpp v41, v49, v41 row_shr:8 row_mask:0xf bank_mask:0xf bound_ctrl:1// 000000008E6C: 285252FA FF091831
	v_or_b32_dpp v42, v50, v42 row_shr:8 row_mask:0xf bank_mask:0xf bound_ctrl:1// 000000008E74: 285454FA FF091832
	v_or_b32_dpp v43, v51, v43 row_shr:8 row_mask:0xf bank_mask:0xf bound_ctrl:1// 000000008E7C: 285656FA FF091833
	v_pk_mul_f32 v[4:5], v[148:149], v[4:5]                    // 000000008E84: D3B14004 18020994
	v_pk_mul_f32 v[6:7], v[148:149], v[6:7]                    // 000000008E8C: D3B14006 18020D94
	v_pk_mul_f32 v[8:9], v[148:149], v[8:9]                    // 000000008E94: D3B14008 18021194
	v_pk_mul_f32 v[10:11], v[148:149], v[10:11]                // 000000008E9C: D3B1400A 18021594
	v_pk_mul_f32 v[12:13], v[148:149], v[12:13]                // 000000008EA4: D3B1400C 18021994
	v_pk_mul_f32 v[14:15], v[148:149], v[14:15]                // 000000008EAC: D3B1400E 18021D94
	v_pk_mul_f32 v[16:17], v[148:149], v[16:17]                // 000000008EB4: D3B14010 18022194
	v_pk_mul_f32 v[18:19], v[148:149], v[18:19]                // 000000008EBC: D3B14012 18022594
	v_mul_f32_e32 v4, v154, v4                                 // 000000008EC4: 0A08099A
	v_mul_f32_e32 v5, v154, v5                                 // 000000008EC8: 0A0A0B9A
	v_mul_f32_e32 v6, v154, v6                                 // 000000008ECC: 0A0C0D9A
	v_mul_f32_e32 v7, v154, v7                                 // 000000008ED0: 0A0E0F9A
	v_mul_f32_e32 v8, v154, v8                                 // 000000008ED4: 0A10119A
	v_mul_f32_e32 v9, v154, v9                                 // 000000008ED8: 0A12139A
	v_mul_f32_e32 v10, v154, v10                               // 000000008EDC: 0A14159A
	v_mul_f32_e32 v11, v154, v11                               // 000000008EE0: 0A16179A
	v_mul_f32_e32 v12, v154, v12                               // 000000008EE4: 0A18199A
	v_mul_f32_e32 v13, v154, v13                               // 000000008EE8: 0A1A1B9A
	v_mul_f32_e32 v14, v154, v14                               // 000000008EEC: 0A1C1D9A
	v_mul_f32_e32 v15, v154, v15                               // 000000008EF0: 0A1E1F9A
	v_mul_f32_e32 v16, v154, v16                               // 000000008EF4: 0A20219A
	v_mul_f32_e32 v17, v154, v17                               // 000000008EF8: 0A22239A
	v_mul_f32_e32 v18, v154, v18                               // 000000008EFC: 0A24259A
	v_mul_f32_e32 v19, v154, v19                               // 000000008F00: 0A26279A
	v_pk_mul_f32 v[20:21], v[150:151], v[20:21]                // 000000008F04: D3B14014 18022996
	v_pk_mul_f32 v[22:23], v[150:151], v[22:23]                // 000000008F0C: D3B14016 18022D96
	v_pk_mul_f32 v[24:25], v[150:151], v[24:25]                // 000000008F14: D3B14018 18023196
	v_pk_mul_f32 v[26:27], v[150:151], v[26:27]                // 000000008F1C: D3B1401A 18023596
	v_pk_mul_f32 v[28:29], v[150:151], v[28:29]                // 000000008F24: D3B1401C 18023996
	v_pk_mul_f32 v[30:31], v[150:151], v[30:31]                // 000000008F2C: D3B1401E 18023D96
	v_pk_mul_f32 v[32:33], v[150:151], v[32:33]                // 000000008F34: D3B14020 18024196
	v_pk_mul_f32 v[34:35], v[150:151], v[34:35]                // 000000008F3C: D3B14022 18024596
	v_mul_f32_e32 v20, v154, v20                               // 000000008F44: 0A28299A
	v_mul_f32_e32 v21, v154, v21                               // 000000008F48: 0A2A2B9A
	v_mul_f32_e32 v22, v154, v22                               // 000000008F4C: 0A2C2D9A
	v_mul_f32_e32 v23, v154, v23                               // 000000008F50: 0A2E2F9A
	v_mul_f32_e32 v24, v154, v24                               // 000000008F54: 0A30319A
	v_mul_f32_e32 v25, v154, v25                               // 000000008F58: 0A32339A
	v_mul_f32_e32 v26, v154, v26                               // 000000008F5C: 0A34359A
	v_mul_f32_e32 v27, v154, v27                               // 000000008F60: 0A36379A
	v_mul_f32_e32 v28, v154, v28                               // 000000008F64: 0A38399A
	v_mul_f32_e32 v29, v154, v29                               // 000000008F68: 0A3A3B9A
	v_mul_f32_e32 v30, v154, v30                               // 000000008F6C: 0A3C3D9A
	v_mul_f32_e32 v31, v154, v31                               // 000000008F70: 0A3E3F9A
	v_mul_f32_e32 v32, v154, v32                               // 000000008F74: 0A40419A
	v_mul_f32_e32 v33, v154, v33                               // 000000008F78: 0A42439A
	v_mul_f32_e32 v34, v154, v34                               // 000000008F7C: 0A44459A
	v_mul_f32_e32 v35, v154, v35                               // 000000008F80: 0A46479A
	v_pk_mul_f32 v[36:37], v[152:153], v[36:37]                // 000000008F84: D3B14024 18024998
	v_pk_mul_f32 v[38:39], v[152:153], v[38:39]                // 000000008F8C: D3B14026 18024D98
	v_pk_mul_f32 v[40:41], v[152:153], v[40:41]                // 000000008F94: D3B14028 18025198
	v_pk_mul_f32 v[42:43], v[152:153], v[42:43]                // 000000008F9C: D3B1402A 18025598
	v_mul_f32_e32 v36, v154, v36                               // 000000008FA4: 0A48499A
	v_mul_f32_e32 v37, v154, v37                               // 000000008FA8: 0A4A4B9A
	v_mul_f32_e32 v38, v154, v38                               // 000000008FAC: 0A4C4D9A
	v_mul_f32_e32 v39, v154, v39                               // 000000008FB0: 0A4E4F9A
	v_mul_f32_e32 v40, v154, v40                               // 000000008FB4: 0A50519A
	v_mul_f32_e32 v41, v154, v41                               // 000000008FB8: 0A52539A
	v_mul_f32_e32 v42, v154, v42                               // 000000008FBC: 0A54559A
	v_mul_f32_e32 v43, v154, v43                               // 000000008FC0: 0A56579A
	v_mov_b32_e32 v190, v36                                    // 000000008FC4: 7F7C0324
	v_max3_f32 v190, v36, v37, v190                            // 000000008FC8: D1D300BE 06FA4B24
	v_max3_f32 v190, v38, v39, v190                            // 000000008FD0: D1D300BE 06FA4F26
	v_max3_f32 v190, v40, v41, v190                            // 000000008FD8: D1D300BE 06FA5328
	v_max3_f32 v190, v42, v43, v190                            // 000000008FE0: D1D300BE 06FA572A
	v_mov_b32_e32 v189, v20                                    // 000000008FE8: 7F7A0314
	v_max3_f32 v189, v20, v21, v189                            // 000000008FEC: D1D300BD 06F62B14
	v_max3_f32 v189, v22, v23, v189                            // 000000008FF4: D1D300BD 06F62F16
	v_max3_f32 v189, v24, v25, v189                            // 000000008FFC: D1D300BD 06F63318
	v_max3_f32 v189, v26, v27, v189                            // 000000009004: D1D300BD 06F6371A
	v_max3_f32 v189, v28, v29, v189                            // 00000000900C: D1D300BD 06F63B1C
	v_max3_f32 v189, v30, v31, v189                            // 000000009014: D1D300BD 06F63F1E
	v_max3_f32 v189, v32, v33, v189                            // 00000000901C: D1D300BD 06F64320
	v_max3_f32 v189, v34, v35, v189                            // 000000009024: D1D300BD 06F64722
	v_mov_b32_e32 v188, v4                                     // 00000000902C: 7F780304
	v_max3_f32 v188, v4, v5, v188                              // 000000009030: D1D300BC 06F20B04
	v_max3_f32 v188, v6, v7, v188                              // 000000009038: D1D300BC 06F20F06
	v_max3_f32 v188, v8, v9, v188                              // 000000009040: D1D300BC 06F21308
	v_max3_f32 v188, v10, v11, v188                            // 000000009048: D1D300BC 06F2170A
	v_max3_f32 v188, v12, v13, v188                            // 000000009050: D1D300BC 06F21B0C
	v_max3_f32 v188, v14, v15, v188                            // 000000009058: D1D300BC 06F21F0E
	v_max3_f32 v188, v16, v17, v188                            // 000000009060: D1D300BC 06F22310
	v_max3_f32 v188, v18, v19, v188                            // 000000009068: D1D300BC 06F22712
	v_max_f32_dpp v190, v190, v190 row_ror:8 row_mask:0xf bank_mask:0xf// 000000009070: 177D7CFA FF0128BE
	v_pk_mul_f32 v[124:125], v[200:201], v[124:125]            // 000000009078: D3B1407C 1802F9C8
	v_pk_mul_f32 v[126:127], v[200:201], v[126:127]            // 000000009080: D3B1407E 1802FDC8
	v_pk_mul_f32 v[128:129], v[200:201], v[128:129]            // 000000009088: D3B14080 180301C8
	v_pk_mul_f32 v[130:131], v[200:201], v[130:131]            // 000000009090: D3B14082 180305C8
	v_pk_mul_f32 v[132:133], v[202:203], v[132:133]            // 000000009098: D3B14084 180309CA
	v_pk_mul_f32 v[134:135], v[202:203], v[134:135]            // 0000000090A0: D3B14086 18030DCA
	v_pk_mul_f32 v[136:137], v[202:203], v[136:137]            // 0000000090A8: D3B14088 180311CA
	v_pk_mul_f32 v[138:139], v[202:203], v[138:139]            // 0000000090B0: D3B1408A 180315CA
	v_pk_mul_f32 v[140:141], v[204:205], v[140:141]            // 0000000090B8: D3B1408C 180319CC
	v_pk_mul_f32 v[142:143], v[204:205], v[142:143]            // 0000000090C0: D3B1408E 18031DCC
	v_pk_mul_f32 v[144:145], v[204:205], v[144:145]            // 0000000090C8: D3B14090 180321CC
	v_pk_mul_f32 v[146:147], v[204:205], v[146:147]            // 0000000090D0: D3B14092 180325CC
	ds_bpermute_b32 v172, v212, v188                           // 0000000090D8: D87E0000 AC00BCD4
	ds_bpermute_b32 v173, v213, v188                           // 0000000090E0: D87E0000 AD00BCD5
	ds_bpermute_b32 v174, v214, v188                           // 0000000090E8: D87E0000 AE00BCD6
	ds_bpermute_b32 v175, v212, v189                           // 0000000090F0: D87E0000 AF00BDD4
	ds_bpermute_b32 v176, v213, v189                           // 0000000090F8: D87E0000 B000BDD5
	ds_bpermute_b32 v177, v214, v189                           // 000000009100: D87E0000 B100BDD6
	ds_bpermute_b32 v178, v212, v190                           // 000000009108: D87E0000 B200BED4
	ds_bpermute_b32 v179, v213, v190                           // 000000009110: D87E0000 B300BED5
	ds_bpermute_b32 v180, v214, v190                           // 000000009118: D87E0000 B400BED6
	s_waitcnt lgkmcnt(6)                                       // 000000009120: BF8CC67F
	v_max3_f32 v188, v172, v173, v188                          // 000000009124: D1D300BC 06F35BAC
	v_max_f32_e32 v188, v174, v188                             // 00000000912C: 177979AE
	s_waitcnt lgkmcnt(3)                                       // 000000009130: BF8CC37F
	v_max3_f32 v189, v175, v176, v189                          // 000000009134: D1D300BD 06F761AF
	v_max_f32_e32 v189, v177, v189                             // 00000000913C: 177B7BB1
	s_waitcnt lgkmcnt(0)                                       // 000000009140: BF8CC07F
	v_max3_f32 v190, v178, v179, v190                          // 000000009144: D1D300BE 06FB67B2
	v_max_f32_e32 v190, v180, v190                             // 00000000914C: 177D7DB4
	ds_write_b128 v252, v[188:191]                             // 000000009150: D9BE0000 0000BCFC
	s_waitcnt lgkmcnt(0)                                       // 000000009158: BF8CC07F
	s_barrier                                                  // 00000000915C: BF8A0000
	v_pk_mul_f32 v[100:101], v[158:159], v[100:101]            // 000000009160: D3B14064 1802C99E
	v_pk_mul_f32 v[102:103], v[158:159], v[102:103]            // 000000009168: D3B14066 1802CD9E
	v_pk_mul_f32 v[104:105], v[158:159], v[104:105]            // 000000009170: D3B14068 1802D19E
	v_pk_mul_f32 v[106:107], v[158:159], v[106:107]            // 000000009178: D3B1406A 1802D59E
	v_pk_mul_f32 v[108:109], v[160:161], v[108:109]            // 000000009180: D3B1406C 1802D9A0
	v_pk_mul_f32 v[110:111], v[160:161], v[110:111]            // 000000009188: D3B1406E 1802DDA0
	v_pk_mul_f32 v[112:113], v[160:161], v[112:113]            // 000000009190: D3B14070 1802E1A0
	v_pk_mul_f32 v[114:115], v[160:161], v[114:115]            // 000000009198: D3B14072 1802E5A0
	v_pk_mul_f32 v[116:117], v[162:163], v[116:117]            // 0000000091A0: D3B14074 1802E9A2
	v_pk_mul_f32 v[118:119], v[162:163], v[118:119]            // 0000000091A8: D3B14076 1802EDA2
	v_pk_mul_f32 v[120:121], v[162:163], v[120:121]            // 0000000091B0: D3B14078 1802F1A2
	v_pk_mul_f32 v[122:123], v[162:163], v[122:123]            // 0000000091B8: D3B1407A 1802F5A2
	ds_read_b128 v[172:175], v253                              // 0000000091C0: D9FE0000 AC0000FD
	ds_read_b128 v[176:179], v253 offset:256                   // 0000000091C8: D9FE0100 B00000FD
	ds_read_b128 v[180:183], v253 offset:512                   // 0000000091D0: D9FE0200 B40000FD
	ds_read_b128 v[184:187], v253 offset:768                   // 0000000091D8: D9FE0300 B80000FD
	s_waitcnt lgkmcnt(0)                                       // 0000000091E0: BF8CC07F
	v_max3_f32 v188, v172, v176, v188                          // 0000000091E4: D1D300BC 06F361AC
	v_max3_f32 v189, v173, v177, v189                          // 0000000091EC: D1D300BD 06F763AD
	v_max3_f32 v190, v174, v178, v190                          // 0000000091F4: D1D300BE 06FB65AE
	v_max3_f32 v188, v180, v184, v188                          // 0000000091FC: D1D300BC 06F371B4
	v_max3_f32 v189, v181, v185, v189                          // 000000009204: D1D300BD 06F773B5
	v_max3_f32 v190, v182, v186, v190                          // 00000000920C: D1D300BE 06FB75B6
	v_max_f32_e32 v197, v188, v194                             // 000000009214: 178B85BC
	v_mul_f32_e64 v168, -s46, v197                             // 000000009218: D10500A8 20038A2E
	v_mov_b32_e32 v169, v168                                   // 000000009220: 7F5203A8
	v_pk_fma_f32 v[4:5], v[4:5], s[46:47], v[168:169]          // 000000009224: D3B04004 1EA05D04
	v_pk_fma_f32 v[6:7], v[6:7], s[46:47], v[168:169]          // 00000000922C: D3B04006 1EA05D06
	v_exp_f32_e32 v4, v4                                       // 000000009234: 7E084104
	v_exp_f32_e32 v5, v5                                       // 000000009238: 7E0A4105
	v_exp_f32_e32 v6, v6                                       // 00000000923C: 7E0C4106
	v_exp_f32_e32 v7, v7                                       // 000000009240: 7E0E4107
	v_pk_fma_f32 v[8:9], v[8:9], s[46:47], v[168:169]          // 000000009244: D3B04008 1EA05D08
	v_pk_fma_f32 v[10:11], v[10:11], s[46:47], v[168:169]      // 00000000924C: D3B0400A 1EA05D0A
	v_exp_f32_e32 v8, v8                                       // 000000009254: 7E104108
	v_exp_f32_e32 v9, v9                                       // 000000009258: 7E124109
	v_exp_f32_e32 v10, v10                                     // 00000000925C: 7E14410A
	v_exp_f32_e32 v11, v11                                     // 000000009260: 7E16410B
	v_pk_fma_f32 v[12:13], v[12:13], s[46:47], v[168:169]      // 000000009264: D3B0400C 1EA05D0C
	v_pk_fma_f32 v[14:15], v[14:15], s[46:47], v[168:169]      // 00000000926C: D3B0400E 1EA05D0E
	v_exp_f32_e32 v12, v12                                     // 000000009274: 7E18410C
	v_exp_f32_e32 v13, v13                                     // 000000009278: 7E1A410D
	v_exp_f32_e32 v14, v14                                     // 00000000927C: 7E1C410E
	v_exp_f32_e32 v15, v15                                     // 000000009280: 7E1E410F
	v_pk_fma_f32 v[16:17], v[16:17], s[46:47], v[168:169]      // 000000009284: D3B04010 1EA05D10
	v_pk_fma_f32 v[18:19], v[18:19], s[46:47], v[168:169]      // 00000000928C: D3B04012 1EA05D12
	v_exp_f32_e32 v16, v16                                     // 000000009294: 7E204110
	v_exp_f32_e32 v17, v17                                     // 000000009298: 7E224111
	v_exp_f32_e32 v18, v18                                     // 00000000929C: 7E244112
	v_exp_f32_e32 v19, v19                                     // 0000000092A0: 7E264113
	v_max_f32_e32 v198, v189, v195                             // 0000000092A4: 178D87BD
	v_mul_f32_e64 v168, -s46, v198                             // 0000000092A8: D10500A8 20038C2E
	v_mov_b32_e32 v169, v168                                   // 0000000092B0: 7F5203A8
	v_pk_fma_f32 v[20:21], v[20:21], s[46:47], v[168:169]      // 0000000092B4: D3B04014 1EA05D14
	v_pk_fma_f32 v[22:23], v[22:23], s[46:47], v[168:169]      // 0000000092BC: D3B04016 1EA05D16
	v_exp_f32_e32 v20, v20                                     // 0000000092C4: 7E284114
	v_exp_f32_e32 v21, v21                                     // 0000000092C8: 7E2A4115
	v_exp_f32_e32 v22, v22                                     // 0000000092CC: 7E2C4116
	v_exp_f32_e32 v23, v23                                     // 0000000092D0: 7E2E4117
	v_pk_fma_f32 v[24:25], v[24:25], s[46:47], v[168:169]      // 0000000092D4: D3B04018 1EA05D18
	v_pk_fma_f32 v[26:27], v[26:27], s[46:47], v[168:169]      // 0000000092DC: D3B0401A 1EA05D1A
	v_exp_f32_e32 v24, v24                                     // 0000000092E4: 7E304118
	v_exp_f32_e32 v25, v25                                     // 0000000092E8: 7E324119
	v_exp_f32_e32 v26, v26                                     // 0000000092EC: 7E34411A
	v_exp_f32_e32 v27, v27                                     // 0000000092F0: 7E36411B
	v_pk_fma_f32 v[28:29], v[28:29], s[46:47], v[168:169]      // 0000000092F4: D3B0401C 1EA05D1C
	v_pk_fma_f32 v[30:31], v[30:31], s[46:47], v[168:169]      // 0000000092FC: D3B0401E 1EA05D1E
	v_exp_f32_e32 v28, v28                                     // 000000009304: 7E38411C
	v_exp_f32_e32 v29, v29                                     // 000000009308: 7E3A411D
	v_exp_f32_e32 v30, v30                                     // 00000000930C: 7E3C411E
	v_exp_f32_e32 v31, v31                                     // 000000009310: 7E3E411F
	v_pk_fma_f32 v[32:33], v[32:33], s[46:47], v[168:169]      // 000000009314: D3B04020 1EA05D20
	v_pk_fma_f32 v[34:35], v[34:35], s[46:47], v[168:169]      // 00000000931C: D3B04022 1EA05D22
	v_exp_f32_e32 v32, v32                                     // 000000009324: 7E404120
	v_exp_f32_e32 v33, v33                                     // 000000009328: 7E424121
	v_exp_f32_e32 v34, v34                                     // 00000000932C: 7E444122
	v_exp_f32_e32 v35, v35                                     // 000000009330: 7E464123
	v_max_f32_e32 v199, v190, v196                             // 000000009334: 178F89BE
	v_mul_f32_e64 v168, -s46, v199                             // 000000009338: D10500A8 20038E2E
	v_mov_b32_e32 v169, v168                                   // 000000009340: 7F5203A8
	v_pk_fma_f32 v[36:37], v[36:37], s[46:47], v[168:169]      // 000000009344: D3B04024 1EA05D24
	v_pk_fma_f32 v[38:39], v[38:39], s[46:47], v[168:169]      // 00000000934C: D3B04026 1EA05D26
	v_exp_f32_e32 v36, v36                                     // 000000009354: 7E484124
	v_exp_f32_e32 v37, v37                                     // 000000009358: 7E4A4125
	v_exp_f32_e32 v38, v38                                     // 00000000935C: 7E4C4126
	v_exp_f32_e32 v39, v39                                     // 000000009360: 7E4E4127
	v_pk_fma_f32 v[40:41], v[40:41], s[46:47], v[168:169]      // 000000009364: D3B04028 1EA05D28
	v_pk_fma_f32 v[42:43], v[42:43], s[46:47], v[168:169]      // 00000000936C: D3B0402A 1EA05D2A
	v_exp_f32_e32 v40, v40                                     // 000000009374: 7E504128
	v_exp_f32_e32 v41, v41                                     // 000000009378: 7E524129
	v_exp_f32_e32 v42, v42                                     // 00000000937C: 7E54412A
	v_exp_f32_e32 v43, v43                                     // 000000009380: 7E56412B
	v_mul_f32_e32 v52, v156, v4                                // 000000009384: 0A68099C
	v_mul_f32_e32 v53, v156, v5                                // 000000009388: 0A6A0B9C
	v_mul_f32_e32 v54, v156, v6                                // 00000000938C: 0A6C0D9C
	v_mul_f32_e32 v55, v156, v7                                // 000000009390: 0A6E0F9C
	v_mul_f32_e32 v56, v156, v8                                // 000000009394: 0A70119C
	v_mul_f32_e32 v57, v156, v9                                // 000000009398: 0A72139C
	v_mul_f32_e32 v58, v156, v10                               // 00000000939C: 0A74159C
	v_mul_f32_e32 v59, v156, v11                               // 0000000093A0: 0A76179C
	v_mul_f32_e32 v60, v156, v12                               // 0000000093A4: 0A78199C
	v_mul_f32_e32 v61, v156, v13                               // 0000000093A8: 0A7A1B9C
	v_mul_f32_e32 v62, v156, v14                               // 0000000093AC: 0A7C1D9C
	v_mul_f32_e32 v63, v156, v15                               // 0000000093B0: 0A7E1F9C
	v_mul_f32_e32 v64, v156, v16                               // 0000000093B4: 0A80219C
	v_mul_f32_e32 v65, v156, v17                               // 0000000093B8: 0A82239C
	v_mul_f32_e32 v66, v156, v18                               // 0000000093BC: 0A84259C
	v_mul_f32_e32 v67, v156, v19                               // 0000000093C0: 0A86279C
	v_mul_f32_e32 v68, v156, v20                               // 0000000093C4: 0A88299C
	v_mul_f32_e32 v69, v156, v21                               // 0000000093C8: 0A8A2B9C
	v_mul_f32_e32 v70, v156, v22                               // 0000000093CC: 0A8C2D9C
	v_mul_f32_e32 v71, v156, v23                               // 0000000093D0: 0A8E2F9C
	v_mul_f32_e32 v72, v156, v24                               // 0000000093D4: 0A90319C
	v_mul_f32_e32 v73, v156, v25                               // 0000000093D8: 0A92339C
	v_mul_f32_e32 v74, v156, v26                               // 0000000093DC: 0A94359C
	v_mul_f32_e32 v75, v156, v27                               // 0000000093E0: 0A96379C
	v_mul_f32_e32 v76, v156, v28                               // 0000000093E4: 0A98399C
	v_mul_f32_e32 v77, v156, v29                               // 0000000093E8: 0A9A3B9C
	v_mul_f32_e32 v78, v156, v30                               // 0000000093EC: 0A9C3D9C
	v_mul_f32_e32 v79, v156, v31                               // 0000000093F0: 0A9E3F9C
	v_mul_f32_e32 v80, v156, v32                               // 0000000093F4: 0AA0419C
	v_mul_f32_e32 v81, v156, v33                               // 0000000093F8: 0AA2439C
	v_mul_f32_e32 v82, v156, v34                               // 0000000093FC: 0AA4459C
	v_mul_f32_e32 v83, v156, v35                               // 000000009400: 0AA6479C
	v_mul_f32_e32 v84, v156, v36                               // 000000009404: 0AA8499C
	v_mul_f32_e32 v85, v156, v37                               // 000000009408: 0AAA4B9C
	v_mul_f32_e32 v86, v156, v38                               // 00000000940C: 0AAC4D9C
	v_mul_f32_e32 v87, v156, v39                               // 000000009410: 0AAE4F9C
	v_mul_f32_e32 v88, v156, v40                               // 000000009414: 0AB0519C
	v_mul_f32_e32 v89, v156, v41                               // 000000009418: 0AB2539C
	v_mul_f32_e32 v90, v156, v42                               // 00000000941C: 0AB4559C
	v_mul_f32_e32 v91, v156, v43                               // 000000009420: 0AB6579C
	buffer_load_dword v155, v238, s[20:23], 0 offen            // 000000009424: E0501000 80059BEE
	v_sub_f32_e32 v200, v194, v197                             // 00000000942C: 05918BC2
	v_cmp_eq_u32_e64 s[98:99], v225, v194                      // 000000009430: D0CA0062 000385E1
	v_cndmask_b32_e64 v200, v200, 0, s[98:99]                  // 000000009438: D10000C8 018901C8
	v_mov_b32_e32 v194, v197                                   // 000000009440: 7F8403C5
	v_mul_f32_e32 v200, s46, v200                              // 000000009444: 0B91902E
	v_exp_f32_e32 v200, v200                                   // 000000009448: 7F9041C8
	v_sub_f32_e32 v202, v195, v198                             // 00000000944C: 05958DC3
	v_cmp_eq_u32_e64 s[98:99], v225, v195                      // 000000009450: D0CA0062 000387E1
	v_cndmask_b32_e64 v202, v202, 0, s[98:99]                  // 000000009458: D10000CA 018901CA
	v_mov_b32_e32 v195, v198                                   // 000000009460: 7F8603C6
	v_mul_f32_e32 v202, s46, v202                              // 000000009464: 0B95942E
	v_exp_f32_e32 v202, v202                                   // 000000009468: 7F9441CA
	v_sub_f32_e32 v204, v196, v199                             // 00000000946C: 05998FC4
	v_cmp_eq_u32_e64 s[98:99], v225, v196                      // 000000009470: D0CA0062 000389E1
	v_cndmask_b32_e64 v204, v204, 0, s[98:99]                  // 000000009478: D10000CC 018901CC
	v_mov_b32_e32 v196, v199                                   // 000000009480: 7F8803C7
	v_mul_f32_e32 v204, s46, v204                              // 000000009484: 0B99982E
	v_exp_f32_e32 v204, v204                                   // 000000009488: 7F9841CC
	v_mov_b32_e32 v201, v200                                   // 00000000948C: 7F9203C8
	v_mov_b32_e32 v203, v202                                   // 000000009490: 7F9603CA
	v_mov_b32_e32 v205, v204                                   // 000000009494: 7F9A03CC
	s_waitcnt lgkmcnt(0)                                       // 000000009498: BF8CC07F
	s_barrier                                                  // 00000000949C: BF8A0000
	buffer_load_dword v157, v239, s[24:27], 0 offen            // 0000000094A0: E0501000 80069DEF
	v_mul_f32_e32 v206, v200, v206                             // 0000000094A8: 0B9D9DC8
	v_mov_b32_e32 v207, 0                                      // 0000000094AC: 7F9E0280
	v_pk_add_f32 v[206:207], v[4:5], v[206:207]                // 0000000094B0: D3B240CE 18039D04
	v_pk_add_f32 v[206:207], v[6:7], v[206:207]                // 0000000094B8: D3B240CE 18039D06
	v_pk_add_f32 v[206:207], v[8:9], v[206:207]                // 0000000094C0: D3B240CE 18039D08
	v_pk_add_f32 v[206:207], v[10:11], v[206:207]              // 0000000094C8: D3B240CE 18039D0A
	v_pk_add_f32 v[206:207], v[12:13], v[206:207]              // 0000000094D0: D3B240CE 18039D0C
	v_pk_add_f32 v[206:207], v[14:15], v[206:207]              // 0000000094D8: D3B240CE 18039D0E
	v_pk_add_f32 v[206:207], v[16:17], v[206:207]              // 0000000094E0: D3B240CE 18039D10
	v_pk_add_f32 v[206:207], v[18:19], v[206:207]              // 0000000094E8: D3B240CE 18039D12
	v_add_f32_e32 v206, v207, v206                             // 0000000094F0: 039D9DCF
	v_mul_f32_e32 v208, v202, v208                             // 0000000094F4: 0BA1A1CA
	v_mov_b32_e32 v209, 0                                      // 0000000094F8: 7FA20280
	v_pk_add_f32 v[208:209], v[20:21], v[208:209]              // 0000000094FC: D3B240D0 1803A114
	v_pk_add_f32 v[208:209], v[22:23], v[208:209]              // 000000009504: D3B240D0 1803A116
	v_pk_add_f32 v[208:209], v[24:25], v[208:209]              // 00000000950C: D3B240D0 1803A118
	v_pk_add_f32 v[208:209], v[26:27], v[208:209]              // 000000009514: D3B240D0 1803A11A
	v_pk_add_f32 v[208:209], v[28:29], v[208:209]              // 00000000951C: D3B240D0 1803A11C
	v_pk_add_f32 v[208:209], v[30:31], v[208:209]              // 000000009524: D3B240D0 1803A11E
	v_pk_add_f32 v[208:209], v[32:33], v[208:209]              // 00000000952C: D3B240D0 1803A120
	v_pk_add_f32 v[208:209], v[34:35], v[208:209]              // 000000009534: D3B240D0 1803A122
	v_add_f32_e32 v208, v209, v208                             // 00000000953C: 03A1A1D1
	v_mul_f32_e32 v210, v204, v210                             // 000000009540: 0BA5A5CC
	v_mov_b32_e32 v211, 0                                      // 000000009544: 7FA60280
	v_pk_add_f32 v[210:211], v[36:37], v[210:211]              // 000000009548: D3B240D2 1803A524
	v_pk_add_f32 v[210:211], v[38:39], v[210:211]              // 000000009550: D3B240D2 1803A526
	v_pk_add_f32 v[210:211], v[40:41], v[210:211]              // 000000009558: D3B240D2 1803A528
	v_pk_add_f32 v[210:211], v[42:43], v[210:211]              // 000000009560: D3B240D2 1803A52A
	v_add_f32_e32 v210, v211, v210                             // 000000009568: 03A5A5D3
	s_waitcnt lgkmcnt(0)                                       // 00000000956C: BF8CC07F
	v_sub_f32_e32 v188, v188, v194                             // 000000009570: 057985BC
	v_sub_f32_e32 v189, v189, v195                             // 000000009574: 057B87BD
	v_sub_f32_e32 v190, v190, v196                             // 000000009578: 057D89BE
	v_mul_f32_e32 v188, s46, v188                              // 00000000957C: 0B79782E
	v_mul_f32_e32 v189, s46, v189                              // 000000009580: 0B7B7A2E
	v_mul_f32_e32 v190, s46, v190                              // 000000009584: 0B7D7C2E
	v_exp_f32_e32 v188, v188                                   // 000000009588: 7F7841BC
	v_exp_f32_e32 v189, v189                                   // 00000000958C: 7F7A41BD
	v_exp_f32_e32 v190, v190                                   // 000000009590: 7F7C41BE
	v_mul_f32_e32 v188, v156, v188                             // 000000009594: 0B79799C
	v_mul_f32_e32 v189, v156, v189                             // 000000009598: 0B7B7B9C
	v_mul_f32_e32 v190, v156, v190                             // 00000000959C: 0B7D7D9C
	v_add_f32_e32 v188, 0x3089705f, v188                       // 0000000095A0: 037978FF 3089705F
	v_add_f32_e32 v189, 0x3089705f, v189                       // 0000000095A8: 037B7AFF 3089705F
	v_add_f32_e32 v190, 0x3089705f, v190                       // 0000000095B0: 037D7CFF 3089705F
	v_rcp_f32_e32 v188, v188                                   // 0000000095B8: 7F7845BC
	v_rcp_f32_e32 v189, v189                                   // 0000000095BC: 7F7A45BD
	v_rcp_f32_e32 v190, v190                                   // 0000000095C0: 7F7C45BE
	v_mul_f32_e32 v188, 0x43700000, v188                       // 0000000095C4: 0B7978FF 43700000
	v_mul_f32_e32 v189, 0x43700000, v189                       // 0000000095CC: 0B7B7AFF 43700000
	v_mul_f32_e32 v190, 0x43700000, v190                       // 0000000095D4: 0B7D7CFF 43700000
	v_mov_b32_e32 v192, v190                                   // 0000000095DC: 7F8003BE
	v_mov_b32_e32 v193, v190                                   // 0000000095E0: 7F8203BE
	v_mov_b32_e32 v190, v189                                   // 0000000095E4: 7F7C03BD
	v_mov_b32_e32 v191, v189                                   // 0000000095E8: 7F7E03BD
	v_mov_b32_e32 v189, v188                                   // 0000000095EC: 7F7A03BC
	v_pk_mul_f32 v[4:5], v[188:189], v[52:53]                  // 0000000095F0: D3B14004 180269BC
	v_pk_mul_f32 v[6:7], v[188:189], v[54:55]                  // 0000000095F8: D3B14006 18026DBC
	v_pk_mul_f32 v[8:9], v[188:189], v[56:57]                  // 000000009600: D3B14008 180271BC
	v_pk_mul_f32 v[10:11], v[188:189], v[58:59]                // 000000009608: D3B1400A 180275BC
	v_pk_mul_f32 v[12:13], v[188:189], v[60:61]                // 000000009610: D3B1400C 180279BC
	v_pk_mul_f32 v[14:15], v[188:189], v[62:63]                // 000000009618: D3B1400E 18027DBC
	v_pk_mul_f32 v[16:17], v[188:189], v[64:65]                // 000000009620: D3B14010 180281BC
	v_pk_mul_f32 v[18:19], v[188:189], v[66:67]                // 000000009628: D3B14012 180285BC
	v_pk_mul_f32 v[20:21], v[190:191], v[68:69]                // 000000009630: D3B14014 180289BE
	v_pk_mul_f32 v[22:23], v[190:191], v[70:71]                // 000000009638: D3B14016 18028DBE
	v_pk_mul_f32 v[24:25], v[190:191], v[72:73]                // 000000009640: D3B14018 180291BE
	v_pk_mul_f32 v[26:27], v[190:191], v[74:75]                // 000000009648: D3B1401A 180295BE
	v_pk_mul_f32 v[28:29], v[190:191], v[76:77]                // 000000009650: D3B1401C 180299BE
	v_pk_mul_f32 v[30:31], v[190:191], v[78:79]                // 000000009658: D3B1401E 18029DBE
	v_pk_mul_f32 v[32:33], v[190:191], v[80:81]                // 000000009660: D3B14020 1802A1BE
	v_pk_mul_f32 v[34:35], v[190:191], v[82:83]                // 000000009668: D3B14022 1802A5BE
	v_pk_mul_f32 v[36:37], v[192:193], v[84:85]                // 000000009670: D3B14024 1802A9C0
	v_pk_mul_f32 v[38:39], v[192:193], v[86:87]                // 000000009678: D3B14026 1802ADC0
	v_pk_mul_f32 v[40:41], v[192:193], v[88:89]                // 000000009680: D3B14028 1802B1C0
	v_pk_mul_f32 v[42:43], v[192:193], v[90:91]                // 000000009688: D3B1402A 1802B5C0
	v_cvt_pk_fp8_f32 v4, v4, v5                                // 000000009690: D2A20004 00020B04
	v_cvt_pk_fp8_f32 v4, v6, v7 op_sel:[0,0,1]                 // 000000009698: D2A24004 00020F06
	v_cvt_pk_fp8_f32 v5, v8, v9                                // 0000000096A0: D2A20005 00021308
	v_cvt_pk_fp8_f32 v5, v10, v11 op_sel:[0,0,1]               // 0000000096A8: D2A24005 0002170A
	v_cvt_pk_fp8_f32 v6, v12, v13                              // 0000000096B0: D2A20006 00021B0C
	v_cvt_pk_fp8_f32 v6, v14, v15 op_sel:[0,0,1]               // 0000000096B8: D2A24006 00021F0E
	v_cvt_pk_fp8_f32 v7, v16, v17                              // 0000000096C0: D2A20007 00022310
	v_cvt_pk_fp8_f32 v7, v18, v19 op_sel:[0,0,1]               // 0000000096C8: D2A24007 00022712
	v_cvt_pk_fp8_f32 v8, v20, v21                              // 0000000096D0: D2A20008 00022B14
	v_cvt_pk_fp8_f32 v8, v22, v23 op_sel:[0,0,1]               // 0000000096D8: D2A24008 00022F16
	v_cvt_pk_fp8_f32 v9, v24, v25                              // 0000000096E0: D2A20009 00023318
	v_cvt_pk_fp8_f32 v9, v26, v27 op_sel:[0,0,1]               // 0000000096E8: D2A24009 0002371A
	v_cvt_pk_fp8_f32 v10, v28, v29                             // 0000000096F0: D2A2000A 00023B1C
	v_cvt_pk_fp8_f32 v10, v30, v31 op_sel:[0,0,1]              // 0000000096F8: D2A2400A 00023F1E
	v_cvt_pk_fp8_f32 v11, v32, v33                             // 000000009700: D2A2000B 00024320
	v_cvt_pk_fp8_f32 v11, v34, v35 op_sel:[0,0,1]              // 000000009708: D2A2400B 00024722
	v_cvt_pk_fp8_f32 v12, v36, v37                             // 000000009710: D2A2000C 00024B24
	v_cvt_pk_fp8_f32 v12, v38, v39 op_sel:[0,0,1]              // 000000009718: D2A2400C 00024F26
	v_cvt_pk_fp8_f32 v13, v40, v41                             // 000000009720: D2A2000D 00025328
	v_cvt_pk_fp8_f32 v13, v42, v43 op_sel:[0,0,1]              // 000000009728: D2A2400D 0002572A
	v_mov_b32_dpp v14, v12 row_shl:8 row_mask:0xf bank_mask:0xf bound_ctrl:1// 000000009730: 7E1C02FA FF09080C
	v_and_b32_e32 v12, v12, v224                               // 000000009738: 2619C10C
	v_mov_b32_dpp v15, v13 row_shl:8 row_mask:0xf bank_mask:0xf bound_ctrl:1// 00000000973C: 7E1E02FA FF09080D
	v_and_b32_e32 v13, v13, v224                               // 000000009744: 261BC10D
	ds_write_b32 v254, v4 offset:8192                          // 000000009748: D81A2000 000004FE
	ds_write_b32 v254, v5 offset:9216                          // 000000009750: D81A2400 000005FE
	ds_write_b32 v254, v6 offset:10240                         // 000000009758: D81A2800 000006FE
	ds_write_b32 v254, v7 offset:11264                         // 000000009760: D81A2C00 000007FE
	ds_write_b32 v254, v8 offset:12288                         // 000000009768: D81A3000 000008FE
	ds_write_b32 v254, v9 offset:13312                         // 000000009770: D81A3400 000009FE
	ds_write_b32 v254, v10 offset:14336                        // 000000009778: D81A3800 00000AFE
	ds_write_b32 v254, v11 offset:15360                        // 000000009780: D81A3C00 00000BFE
	ds_write_b32 v254, v12 offset:16384                        // 000000009788: D81A4000 00000CFE
	ds_write_b32 v254, v13 offset:17408                        // 000000009790: D81A4400 00000DFE
	ds_write_b32 v254, v14 offset:18432                        // 000000009798: D81A4800 00000EFE
	ds_write_b32 v254, v15 offset:19456                        // 0000000097A0: D81A4C00 00000FFE
	v_rcp_f32_e32 v158, v188                                   // 0000000097A8: 7F3C45BC
	v_rcp_f32_e32 v160, v190                                   // 0000000097AC: 7F4045BE
	v_rcp_f32_e32 v162, v192                                   // 0000000097B0: 7F4445C0
	v_mov_b32_e32 v159, v158                                   // 0000000097B4: 7F3E039E
	v_mov_b32_e32 v161, v160                                   // 0000000097B8: 7F4203A0
	v_mov_b32_e32 v163, v162                                   // 0000000097BC: 7F4603A2
	v_pk_add_f32 v[124:125], v[124:125], v[100:101]            // 0000000097C0: D3B2407C 1802C97C
	v_pk_add_f32 v[126:127], v[126:127], v[102:103]            // 0000000097C8: D3B2407E 1802CD7E
	v_pk_add_f32 v[128:129], v[128:129], v[104:105]            // 0000000097D0: D3B24080 1802D180
	v_pk_add_f32 v[130:131], v[130:131], v[106:107]            // 0000000097D8: D3B24082 1802D582
	v_pk_add_f32 v[132:133], v[132:133], v[108:109]            // 0000000097E0: D3B24084 1802D984
	v_pk_add_f32 v[134:135], v[134:135], v[110:111]            // 0000000097E8: D3B24086 1802DD86
	v_pk_add_f32 v[136:137], v[136:137], v[112:113]            // 0000000097F0: D3B24088 1802E188
	v_pk_add_f32 v[138:139], v[138:139], v[114:115]            // 0000000097F8: D3B2408A 1802E58A
	v_pk_add_f32 v[140:141], v[140:141], v[116:117]            // 000000009800: D3B2408C 1802E98C
	v_pk_add_f32 v[142:143], v[142:143], v[118:119]            // 000000009808: D3B2408E 1802ED8E
	v_pk_add_f32 v[144:145], v[144:145], v[120:121]            // 000000009810: D3B24090 1802F190
	v_pk_add_f32 v[146:147], v[146:147], v[122:123]            // 000000009818: D3B24092 1802F592
	s_waitcnt lgkmcnt(0)                                       // 000000009820: BF8CC07F
	s_barrier                                                  // 000000009824: BF8A0000
	ds_read_b128 v[4:7], v255 offset:8192                      // 000000009828: D9FE2000 040000FF
	ds_read_b128 v[8:11], v255 offset:9216                     // 000000009830: D9FE2400 080000FF
	ds_read_b128 v[12:15], v255 offset:10240                   // 000000009838: D9FE2800 0C0000FF
	ds_read_b128 v[16:19], v255 offset:11264                   // 000000009840: D9FE2C00 100000FF
	ds_read_b128 v[20:23], v255 offset:12288                   // 000000009848: D9FE3000 140000FF
	ds_read_b128 v[24:27], v255 offset:13312                   // 000000009850: D9FE3400 180000FF
	ds_read_b128 v[28:31], v255 offset:14336                   // 000000009858: D9FE3800 1C0000FF
	ds_read_b128 v[32:35], v255 offset:15360                   // 000000009860: D9FE3C00 200000FF
	ds_read_b128 v[36:39], v255 offset:16384                   // 000000009868: D9FE4000 240000FF
	ds_read_b128 v[40:43], v255 offset:17408                   // 000000009870: D9FE4400 280000FF
	ds_read_b128 v[44:47], v255 offset:18432                   // 000000009878: D9FE4800 2C0000FF
	ds_read_b128 v[48:51], v255 offset:19456                   // 000000009880: D9FE4C00 300000FF
	s_waitcnt vmcnt(10)                                        // 000000009888: BF8C0F7A
	s_waitcnt lgkmcnt(11)                                      // 00000000988C: BF8CCB7F
	v_mfma_f32_16x16x32_fp8_fp8 v[100:103], a[88:89], v[4:5], 0// 000000009890: D3F30064 0A020958
	v_mfma_f32_16x16x32_fp8_fp8 v[104:107], a[104:105], v[4:5], 0// 000000009898: D3F30068 0A020968
	v_mfma_f32_16x16x32_fp8_fp8 v[100:103], a[90:91], v[6:7], v[100:103]// 0000000098A0: D3F30064 0D920D5A
	buffer_load_dwordx4 a[120:123], v234, s[16:19], 0 offen    // 0000000098A8: E05C1000 808478EA
	v_mfma_f32_16x16x32_fp8_fp8 v[104:107], a[106:107], v[6:7], v[104:107]// 0000000098B0: D3F30068 0DA20D6A
	s_waitcnt lgkmcnt(10)                                      // 0000000098B8: BF8CCA7F
	v_mfma_f32_16x16x32_fp8_fp8 v[100:103], a[92:93], v[8:9], v[100:103]// 0000000098BC: D3F30064 0D92115C
	v_mfma_f32_16x16x32_fp8_fp8 v[104:107], a[108:109], v[8:9], v[104:107]// 0000000098C4: D3F30068 0DA2116C
	v_mfma_f32_16x16x32_fp8_fp8 v[100:103], a[94:95], v[10:11], v[100:103]// 0000000098CC: D3F30064 0D92155E
	buffer_load_dwordx4 a[124:127], v235, s[16:19], 0 offen    // 0000000098D4: E05C1000 80847CEB
	v_mfma_f32_16x16x32_fp8_fp8 v[104:107], a[110:111], v[10:11], v[104:107]// 0000000098DC: D3F30068 0DA2156E
	s_waitcnt lgkmcnt(9)                                       // 0000000098E4: BF8CC97F
	v_mfma_f32_16x16x32_fp8_fp8 v[100:103], a[96:97], v[12:13], v[100:103]// 0000000098E8: D3F30064 0D921960
	v_mfma_f32_16x16x32_fp8_fp8 v[104:107], a[112:113], v[12:13], v[104:107]// 0000000098F0: D3F30068 0DA21970
	v_mfma_f32_16x16x32_fp8_fp8 v[100:103], a[98:99], v[14:15], v[100:103]// 0000000098F8: D3F30064 0D921D62
	buffer_load_dwordx4 a[128:131], v236, s[16:19], 0 offen    // 000000009900: E05C1000 808480EC
	v_mfma_f32_16x16x32_fp8_fp8 v[104:107], a[114:115], v[14:15], v[104:107]// 000000009908: D3F30068 0DA21D72
	s_waitcnt lgkmcnt(8)                                       // 000000009910: BF8CC87F
	v_mfma_f32_16x16x32_fp8_fp8 v[100:103], a[100:101], v[16:17], v[100:103]// 000000009914: D3F30064 0D922164
	v_mfma_f32_16x16x32_fp8_fp8 v[104:107], a[116:117], v[16:17], v[104:107]// 00000000991C: D3F30068 0DA22174
	v_mfma_f32_16x16x32_fp8_fp8 v[100:103], a[102:103], v[18:19], v[100:103]// 000000009924: D3F30064 0D922566
	buffer_load_dwordx4 a[132:135], v237, s[16:19], 0 offen    // 00000000992C: E05C1000 808484ED
	v_mfma_f32_16x16x32_fp8_fp8 v[104:107], a[118:119], v[18:19], v[104:107]// 000000009934: D3F30068 0DA22576
	s_waitcnt lgkmcnt(7)                                       // 00000000993C: BF8CC77F
	v_mfma_f32_16x16x32_fp8_fp8 v[108:111], a[88:89], v[20:21], 0// 000000009940: D3F3006C 0A022958
	v_mfma_f32_16x16x32_fp8_fp8 v[112:115], a[104:105], v[20:21], 0// 000000009948: D3F30070 0A022968
	v_mfma_f32_16x16x32_fp8_fp8 v[108:111], a[90:91], v[22:23], v[108:111]// 000000009950: D3F3006C 0DB22D5A
	buffer_load_dwordx4 a[136:139], v234, s[16:19], 0 offen offset:1024// 000000009958: E05C1400 808488EA
	v_mfma_f32_16x16x32_fp8_fp8 v[112:115], a[106:107], v[22:23], v[112:115]// 000000009960: D3F30070 0DC22D6A
	s_waitcnt lgkmcnt(6)                                       // 000000009968: BF8CC67F
	v_mfma_f32_16x16x32_fp8_fp8 v[108:111], a[92:93], v[24:25], v[108:111]// 00000000996C: D3F3006C 0DB2315C
	v_mfma_f32_16x16x32_fp8_fp8 v[112:115], a[108:109], v[24:25], v[112:115]// 000000009974: D3F30070 0DC2316C
	v_mfma_f32_16x16x32_fp8_fp8 v[108:111], a[94:95], v[26:27], v[108:111]// 00000000997C: D3F3006C 0DB2355E
	buffer_load_dwordx4 a[140:143], v235, s[16:19], 0 offen offset:1024// 000000009984: E05C1400 80848CEB
	v_mfma_f32_16x16x32_fp8_fp8 v[112:115], a[110:111], v[26:27], v[112:115]// 00000000998C: D3F30070 0DC2356E
	s_waitcnt lgkmcnt(5)                                       // 000000009994: BF8CC57F
	v_mfma_f32_16x16x32_fp8_fp8 v[108:111], a[96:97], v[28:29], v[108:111]// 000000009998: D3F3006C 0DB23960
	v_mfma_f32_16x16x32_fp8_fp8 v[112:115], a[112:113], v[28:29], v[112:115]// 0000000099A0: D3F30070 0DC23970
	v_mfma_f32_16x16x32_fp8_fp8 v[108:111], a[98:99], v[30:31], v[108:111]// 0000000099A8: D3F3006C 0DB23D62
	buffer_load_dwordx4 a[144:147], v236, s[16:19], 0 offen offset:1024// 0000000099B0: E05C1400 808490EC
	v_mfma_f32_16x16x32_fp8_fp8 v[112:115], a[114:115], v[30:31], v[112:115]// 0000000099B8: D3F30070 0DC23D72
	s_waitcnt lgkmcnt(4)                                       // 0000000099C0: BF8CC47F
	v_mfma_f32_16x16x32_fp8_fp8 v[108:111], a[100:101], v[32:33], v[108:111]// 0000000099C4: D3F3006C 0DB24164
	v_mfma_f32_16x16x32_fp8_fp8 v[112:115], a[116:117], v[32:33], v[112:115]// 0000000099CC: D3F30070 0DC24174
	v_mfma_f32_16x16x32_fp8_fp8 v[108:111], a[102:103], v[34:35], v[108:111]// 0000000099D4: D3F3006C 0DB24566
	buffer_load_dwordx4 a[148:151], v237, s[16:19], 0 offen offset:1024// 0000000099DC: E05C1400 808494ED
	v_mfma_f32_16x16x32_fp8_fp8 v[112:115], a[118:119], v[34:35], v[112:115]// 0000000099E4: D3F30070 0DC24576
	s_waitcnt lgkmcnt(3)                                       // 0000000099EC: BF8CC37F
	v_mfma_f32_16x16x32_fp8_fp8 v[116:119], a[88:89], v[36:37], 0// 0000000099F0: D3F30074 0A024958
	v_mfma_f32_16x16x32_fp8_fp8 v[120:123], a[104:105], v[36:37], 0// 0000000099F8: D3F30078 0A024968
	v_mfma_f32_16x16x32_fp8_fp8 v[116:119], a[90:91], v[38:39], v[116:119]// 000000009A00: D3F30074 0DD24D5A
	v_mfma_f32_16x16x32_fp8_fp8 v[120:123], a[106:107], v[38:39], v[120:123]// 000000009A08: D3F30078 0DE24D6A
	s_waitcnt lgkmcnt(2)                                       // 000000009A10: BF8CC27F
	v_mfma_f32_16x16x32_fp8_fp8 v[116:119], a[92:93], v[40:41], v[116:119]// 000000009A14: D3F30074 0DD2515C
	v_mfma_f32_16x16x32_fp8_fp8 v[120:123], a[108:109], v[40:41], v[120:123]// 000000009A1C: D3F30078 0DE2516C
	v_mfma_f32_16x16x32_fp8_fp8 v[116:119], a[94:95], v[42:43], v[116:119]// 000000009A24: D3F30074 0DD2555E
	v_mfma_f32_16x16x32_fp8_fp8 v[120:123], a[110:111], v[42:43], v[120:123]// 000000009A2C: D3F30078 0DE2556E
	s_waitcnt lgkmcnt(1)                                       // 000000009A34: BF8CC17F
	v_mfma_f32_16x16x32_fp8_fp8 v[116:119], a[96:97], v[44:45], v[116:119]// 000000009A38: D3F30074 0DD25960
	v_mfma_f32_16x16x32_fp8_fp8 v[120:123], a[112:113], v[44:45], v[120:123]// 000000009A40: D3F30078 0DE25970
	v_mfma_f32_16x16x32_fp8_fp8 v[116:119], a[98:99], v[46:47], v[116:119]// 000000009A48: D3F30074 0DD25D62
	v_mfma_f32_16x16x32_fp8_fp8 v[120:123], a[114:115], v[46:47], v[120:123]// 000000009A50: D3F30078 0DE25D72
	s_waitcnt lgkmcnt(0)                                       // 000000009A58: BF8CC07F
	v_mfma_f32_16x16x32_fp8_fp8 v[116:119], a[100:101], v[48:49], v[116:119]// 000000009A5C: D3F30074 0DD26164
	v_mfma_f32_16x16x32_fp8_fp8 v[120:123], a[116:117], v[48:49], v[120:123]// 000000009A64: D3F30078 0DE26174
	v_mfma_f32_16x16x32_fp8_fp8 v[116:119], a[102:103], v[50:51], v[116:119]// 000000009A6C: D3F30074 0DD26566
	v_mfma_f32_16x16x32_fp8_fp8 v[120:123], a[118:119], v[50:51], v[120:123]// 000000009A74: D3F30078 0DE26576
	s_addk_i32 s64, 0x100                                      // 000000009A7C: B7400100
	s_cmp_lt_i32 s64, s63                                      // 000000009A80: BF043F40
	s_cbranch_scc0 label_34DB                                  // 000000009A84: BF8417B9
	s_waitcnt vmcnt(10)                                        // 000000009A88: BF8C0F7A
	v_mfma_f32_16x16x32_fp8_fp8 v[4:7], a[56:57], a[0:1], 0    // 000000009A8C: D3F30004 1A020138
	s_add_u32 s12, s86, s69                                    // 000000009A94: 800C4556
	s_addc_u32 s13, s87, 0                                     // 000000009A98: 820D8057
	v_mfma_f32_16x16x32_fp8_fp8 v[4:7], a[58:59], a[2:3], v[4:7]// 000000009A9C: D3F30004 1C12053A
	s_add_u32 s16, s88, s70                                    // 000000009AA4: 80104658
	s_addc_u32 s17, s89, 0                                     // 000000009AA8: 82118059
	v_mfma_f32_16x16x32_fp8_fp8 v[4:7], a[60:61], a[4:5], v[4:7]// 000000009AAC: D3F30004 1C12093C
	buffer_load_dwordx4 a[24:27], v232, s[12:15], 0 offen      // 000000009AB4: E05C1000 808318E8
	v_mfma_f32_16x16x32_fp8_fp8 v[4:7], a[62:63], a[6:7], v[4:7]// 000000009ABC: D3F30004 1C120D3E
	s_add_u32 s20, s90, s71                                    // 000000009AC4: 8014475A
	s_addc_u32 s21, s91, 0                                     // 000000009AC8: 8215805B
	v_mfma_f32_16x16x32_fp8_fp8 v[8:11], a[64:65], a[0:1], 0   // 000000009ACC: D3F30008 1A020140
	s_add_u32 s24, s92, s71                                    // 000000009AD4: 8018475C
	s_addc_u32 s25, s93, 0                                     // 000000009AD8: 8219805D
	v_mfma_f32_16x16x32_fp8_fp8 v[8:11], a[66:67], a[2:3], v[8:11]// 000000009ADC: D3F30008 1C220542
	s_add_u32 s69, s69, 0x1000                                 // 000000009AE4: 8045FF45 00001000
	s_add_u32 s70, s70, 0x8000                                 // 000000009AEC: 8046FF46 00008000
	v_mfma_f32_16x16x32_fp8_fp8 v[8:11], a[68:69], a[4:5], v[8:11]// 000000009AF4: D3F30008 1C220944
	buffer_load_dwordx4 a[28:31], v233, s[12:15], 0 offen      // 000000009AFC: E05C1000 80831CE9
	v_mfma_f32_16x16x32_fp8_fp8 v[8:11], a[70:71], a[6:7], v[8:11]// 000000009B04: D3F30008 1C220D46
	v_mfma_f32_16x16x32_fp8_fp8 v[12:15], a[72:73], a[0:1], 0  // 000000009B0C: D3F3000C 1A020148
	v_mfma_f32_16x16x32_fp8_fp8 v[12:15], a[74:75], a[2:3], v[12:15]// 000000009B14: D3F3000C 1C32054A
	v_mfma_f32_16x16x32_fp8_fp8 v[12:15], a[76:77], a[4:5], v[12:15]// 000000009B1C: D3F3000C 1C32094C
	buffer_load_dwordx4 a[32:35], v232, s[12:15], 0 offen offset:1024// 000000009B24: E05C1400 808320E8
	v_mfma_f32_16x16x32_fp8_fp8 v[12:15], a[78:79], a[6:7], v[12:15]// 000000009B2C: D3F3000C 1C320D4E
	v_mfma_f32_16x16x32_fp8_fp8 v[16:19], a[80:81], a[0:1], 0  // 000000009B34: D3F30010 1A020150
	v_mfma_f32_16x16x32_fp8_fp8 v[16:19], a[82:83], a[2:3], v[16:19]// 000000009B3C: D3F30010 1C420552
	v_mfma_f32_16x16x32_fp8_fp8 v[16:19], a[84:85], a[4:5], v[16:19]// 000000009B44: D3F30010 1C420954
	buffer_load_dwordx4 a[36:39], v233, s[12:15], 0 offen offset:1024// 000000009B4C: E05C1400 808324E9
	v_mfma_f32_16x16x32_fp8_fp8 v[16:19], a[86:87], a[6:7], v[16:19]// 000000009B54: D3F30010 1C420D56
	v_mfma_f32_16x16x32_fp8_fp8 v[20:23], a[56:57], a[8:9], 0  // 000000009B5C: D3F30014 1A021138
	v_mfma_f32_16x16x32_fp8_fp8 v[20:23], a[58:59], a[10:11], v[20:23]// 000000009B64: D3F30014 1C52153A
	v_mfma_f32_16x16x32_fp8_fp8 v[20:23], a[60:61], a[12:13], v[20:23]// 000000009B6C: D3F30014 1C52193C
	buffer_load_dwordx4 a[40:43], v232, s[12:15], 0 offen offset:2048// 000000009B74: E05C1800 808328E8
	v_mfma_f32_16x16x32_fp8_fp8 v[20:23], a[62:63], a[14:15], v[20:23]// 000000009B7C: D3F30014 1C521D3E
	v_mfma_f32_16x16x32_fp8_fp8 v[24:27], a[64:65], a[8:9], 0  // 000000009B84: D3F30018 1A021140
	v_mfma_f32_16x16x32_fp8_fp8 v[24:27], a[66:67], a[10:11], v[24:27]// 000000009B8C: D3F30018 1C621542
	v_mfma_f32_16x16x32_fp8_fp8 v[24:27], a[68:69], a[12:13], v[24:27]// 000000009B94: D3F30018 1C621944
	buffer_load_dwordx4 a[44:47], v233, s[12:15], 0 offen offset:2048// 000000009B9C: E05C1800 80832CE9
	v_mfma_f32_16x16x32_fp8_fp8 v[24:27], a[70:71], a[14:15], v[24:27]// 000000009BA4: D3F30018 1C621D46
	v_mfma_f32_16x16x32_fp8_fp8 v[28:31], a[72:73], a[8:9], 0  // 000000009BAC: D3F3001C 1A021148
	v_mfma_f32_16x16x32_fp8_fp8 v[28:31], a[74:75], a[10:11], v[28:31]// 000000009BB4: D3F3001C 1C72154A
	v_mfma_f32_16x16x32_fp8_fp8 v[28:31], a[76:77], a[12:13], v[28:31]// 000000009BBC: D3F3001C 1C72194C
	buffer_load_dwordx4 a[48:51], v232, s[12:15], 0 offen offset:3072// 000000009BC4: E05C1C00 808330E8
	v_mfma_f32_16x16x32_fp8_fp8 v[28:31], a[78:79], a[14:15], v[28:31]// 000000009BCC: D3F3001C 1C721D4E
	v_mfma_f32_16x16x32_fp8_fp8 v[32:35], a[80:81], a[8:9], 0  // 000000009BD4: D3F30020 1A021150
	v_mfma_f32_16x16x32_fp8_fp8 v[32:35], a[82:83], a[10:11], v[32:35]// 000000009BDC: D3F30020 1C821552
	v_mfma_f32_16x16x32_fp8_fp8 v[32:35], a[84:85], a[12:13], v[32:35]// 000000009BE4: D3F30020 1C821954
	buffer_load_dwordx4 a[52:55], v233, s[12:15], 0 offen offset:3072// 000000009BEC: E05C1C00 808334E9
	v_mfma_f32_16x16x32_fp8_fp8 v[32:35], a[86:87], a[14:15], v[32:35]// 000000009BF4: D3F30020 1C821D56
	v_mfma_f32_16x16x32_fp8_fp8 v[36:39], a[56:57], a[16:17], 0// 000000009BFC: D3F30024 1A022138
	v_mfma_f32_16x16x32_fp8_fp8 v[36:39], a[58:59], a[18:19], v[36:39]// 000000009C04: D3F30024 1C92253A
	v_mfma_f32_16x16x32_fp8_fp8 v[36:39], a[60:61], a[20:21], v[36:39]// 000000009C0C: D3F30024 1C92293C
	v_mfma_f32_16x16x32_fp8_fp8 v[36:39], a[62:63], a[22:23], v[36:39]// 000000009C14: D3F30024 1C922D3E
	v_mfma_f32_16x16x32_fp8_fp8 v[40:43], a[64:65], a[16:17], 0// 000000009C1C: D3F30028 1A022140
	v_mfma_f32_16x16x32_fp8_fp8 v[40:43], a[66:67], a[18:19], v[40:43]// 000000009C24: D3F30028 1CA22542
	v_mfma_f32_16x16x32_fp8_fp8 v[40:43], a[68:69], a[20:21], v[40:43]// 000000009C2C: D3F30028 1CA22944
	v_mfma_f32_16x16x32_fp8_fp8 v[40:43], a[70:71], a[22:23], v[40:43]// 000000009C34: D3F30028 1CA22D46
	v_mfma_f32_16x16x32_fp8_fp8 v[44:47], a[72:73], a[16:17], 0// 000000009C3C: D3F3002C 1A022148
	v_mfma_f32_16x16x32_fp8_fp8 v[44:47], a[74:75], a[18:19], v[44:47]// 000000009C44: D3F3002C 1CB2254A
	v_mfma_f32_16x16x32_fp8_fp8 v[44:47], a[76:77], a[20:21], v[44:47]// 000000009C4C: D3F3002C 1CB2294C
	v_mfma_f32_16x16x32_fp8_fp8 v[44:47], a[78:79], a[22:23], v[44:47]// 000000009C54: D3F3002C 1CB22D4E
	v_mfma_f32_16x16x32_fp8_fp8 v[48:51], a[80:81], a[16:17], 0// 000000009C5C: D3F30030 1A022150
	v_mfma_f32_16x16x32_fp8_fp8 v[48:51], a[82:83], a[18:19], v[48:51]// 000000009C64: D3F30030 1CC22552
	v_mfma_f32_16x16x32_fp8_fp8 v[48:51], a[84:85], a[20:21], v[48:51]// 000000009C6C: D3F30030 1CC22954
	v_mfma_f32_16x16x32_fp8_fp8 v[48:51], a[86:87], a[22:23], v[48:51]// 000000009C74: D3F30030 1CC22D56
	s_waitcnt vmcnt(16)                                        // 000000009C7C: BF8C4F70
	v_or_b32_dpp v36, v44, v36 row_shr:8 row_mask:0xf bank_mask:0xf bound_ctrl:1// 000000009C80: 284848FA FF09182C
	v_or_b32_dpp v37, v45, v37 row_shr:8 row_mask:0xf bank_mask:0xf bound_ctrl:1// 000000009C88: 284A4AFA FF09182D
	v_or_b32_dpp v38, v46, v38 row_shr:8 row_mask:0xf bank_mask:0xf bound_ctrl:1// 000000009C90: 284C4CFA FF09182E
	v_or_b32_dpp v39, v47, v39 row_shr:8 row_mask:0xf bank_mask:0xf bound_ctrl:1// 000000009C98: 284E4EFA FF09182F
	v_or_b32_dpp v40, v48, v40 row_shr:8 row_mask:0xf bank_mask:0xf bound_ctrl:1// 000000009CA0: 285050FA FF091830
	v_or_b32_dpp v41, v49, v41 row_shr:8 row_mask:0xf bank_mask:0xf bound_ctrl:1// 000000009CA8: 285252FA FF091831
	v_or_b32_dpp v42, v50, v42 row_shr:8 row_mask:0xf bank_mask:0xf bound_ctrl:1// 000000009CB0: 285454FA FF091832
	v_or_b32_dpp v43, v51, v43 row_shr:8 row_mask:0xf bank_mask:0xf bound_ctrl:1// 000000009CB8: 285656FA FF091833
	v_pk_mul_f32 v[4:5], v[148:149], v[4:5]                    // 000000009CC0: D3B14004 18020994
	v_pk_mul_f32 v[6:7], v[148:149], v[6:7]                    // 000000009CC8: D3B14006 18020D94
	v_pk_mul_f32 v[8:9], v[148:149], v[8:9]                    // 000000009CD0: D3B14008 18021194
	v_pk_mul_f32 v[10:11], v[148:149], v[10:11]                // 000000009CD8: D3B1400A 18021594
	v_pk_mul_f32 v[12:13], v[148:149], v[12:13]                // 000000009CE0: D3B1400C 18021994
	v_pk_mul_f32 v[14:15], v[148:149], v[14:15]                // 000000009CE8: D3B1400E 18021D94
	v_pk_mul_f32 v[16:17], v[148:149], v[16:17]                // 000000009CF0: D3B14010 18022194
	v_pk_mul_f32 v[18:19], v[148:149], v[18:19]                // 000000009CF8: D3B14012 18022594
	v_mul_f32_e32 v4, v155, v4                                 // 000000009D00: 0A08099B
	v_mul_f32_e32 v5, v155, v5                                 // 000000009D04: 0A0A0B9B
	v_mul_f32_e32 v6, v155, v6                                 // 000000009D08: 0A0C0D9B
	v_mul_f32_e32 v7, v155, v7                                 // 000000009D0C: 0A0E0F9B
	v_mul_f32_e32 v8, v155, v8                                 // 000000009D10: 0A10119B
	v_mul_f32_e32 v9, v155, v9                                 // 000000009D14: 0A12139B
	v_mul_f32_e32 v10, v155, v10                               // 000000009D18: 0A14159B
	v_mul_f32_e32 v11, v155, v11                               // 000000009D1C: 0A16179B
	v_mul_f32_e32 v12, v155, v12                               // 000000009D20: 0A18199B
	v_mul_f32_e32 v13, v155, v13                               // 000000009D24: 0A1A1B9B
	v_mul_f32_e32 v14, v155, v14                               // 000000009D28: 0A1C1D9B
	v_mul_f32_e32 v15, v155, v15                               // 000000009D2C: 0A1E1F9B
	v_mul_f32_e32 v16, v155, v16                               // 000000009D30: 0A20219B
	v_mul_f32_e32 v17, v155, v17                               // 000000009D34: 0A22239B
	v_mul_f32_e32 v18, v155, v18                               // 000000009D38: 0A24259B
	v_mul_f32_e32 v19, v155, v19                               // 000000009D3C: 0A26279B
	v_pk_mul_f32 v[20:21], v[150:151], v[20:21]                // 000000009D40: D3B14014 18022996
	v_pk_mul_f32 v[22:23], v[150:151], v[22:23]                // 000000009D48: D3B14016 18022D96
	v_pk_mul_f32 v[24:25], v[150:151], v[24:25]                // 000000009D50: D3B14018 18023196
	v_pk_mul_f32 v[26:27], v[150:151], v[26:27]                // 000000009D58: D3B1401A 18023596
	v_pk_mul_f32 v[28:29], v[150:151], v[28:29]                // 000000009D60: D3B1401C 18023996
	v_pk_mul_f32 v[30:31], v[150:151], v[30:31]                // 000000009D68: D3B1401E 18023D96
	v_pk_mul_f32 v[32:33], v[150:151], v[32:33]                // 000000009D70: D3B14020 18024196
	v_pk_mul_f32 v[34:35], v[150:151], v[34:35]                // 000000009D78: D3B14022 18024596
	v_mul_f32_e32 v20, v155, v20                               // 000000009D80: 0A28299B
	v_mul_f32_e32 v21, v155, v21                               // 000000009D84: 0A2A2B9B
	v_mul_f32_e32 v22, v155, v22                               // 000000009D88: 0A2C2D9B
	v_mul_f32_e32 v23, v155, v23                               // 000000009D8C: 0A2E2F9B
	v_mul_f32_e32 v24, v155, v24                               // 000000009D90: 0A30319B
	v_mul_f32_e32 v25, v155, v25                               // 000000009D94: 0A32339B
	v_mul_f32_e32 v26, v155, v26                               // 000000009D98: 0A34359B
	v_mul_f32_e32 v27, v155, v27                               // 000000009D9C: 0A36379B
	v_mul_f32_e32 v28, v155, v28                               // 000000009DA0: 0A38399B
	v_mul_f32_e32 v29, v155, v29                               // 000000009DA4: 0A3A3B9B
	v_mul_f32_e32 v30, v155, v30                               // 000000009DA8: 0A3C3D9B
	v_mul_f32_e32 v31, v155, v31                               // 000000009DAC: 0A3E3F9B
	v_mul_f32_e32 v32, v155, v32                               // 000000009DB0: 0A40419B
	v_mul_f32_e32 v33, v155, v33                               // 000000009DB4: 0A42439B
	v_mul_f32_e32 v34, v155, v34                               // 000000009DB8: 0A44459B
	v_mul_f32_e32 v35, v155, v35                               // 000000009DBC: 0A46479B
	v_pk_mul_f32 v[36:37], v[152:153], v[36:37]                // 000000009DC0: D3B14024 18024998
	v_pk_mul_f32 v[38:39], v[152:153], v[38:39]                // 000000009DC8: D3B14026 18024D98
	v_pk_mul_f32 v[40:41], v[152:153], v[40:41]                // 000000009DD0: D3B14028 18025198
	v_pk_mul_f32 v[42:43], v[152:153], v[42:43]                // 000000009DD8: D3B1402A 18025598
	v_mul_f32_e32 v36, v155, v36                               // 000000009DE0: 0A48499B
	v_mul_f32_e32 v37, v155, v37                               // 000000009DE4: 0A4A4B9B
	v_mul_f32_e32 v38, v155, v38                               // 000000009DE8: 0A4C4D9B
	v_mul_f32_e32 v39, v155, v39                               // 000000009DEC: 0A4E4F9B
	v_mul_f32_e32 v40, v155, v40                               // 000000009DF0: 0A50519B
	v_mul_f32_e32 v41, v155, v41                               // 000000009DF4: 0A52539B
	v_mul_f32_e32 v42, v155, v42                               // 000000009DF8: 0A54559B
	v_mul_f32_e32 v43, v155, v43                               // 000000009DFC: 0A56579B
	v_mov_b32_e32 v190, v36                                    // 000000009E00: 7F7C0324
	v_max3_f32 v190, v36, v37, v190                            // 000000009E04: D1D300BE 06FA4B24
	v_max3_f32 v190, v38, v39, v190                            // 000000009E0C: D1D300BE 06FA4F26
	v_max3_f32 v190, v40, v41, v190                            // 000000009E14: D1D300BE 06FA5328
	v_max3_f32 v190, v42, v43, v190                            // 000000009E1C: D1D300BE 06FA572A
	v_mov_b32_e32 v189, v20                                    // 000000009E24: 7F7A0314
	v_max3_f32 v189, v20, v21, v189                            // 000000009E28: D1D300BD 06F62B14
	v_max3_f32 v189, v22, v23, v189                            // 000000009E30: D1D300BD 06F62F16
	v_max3_f32 v189, v24, v25, v189                            // 000000009E38: D1D300BD 06F63318
	v_max3_f32 v189, v26, v27, v189                            // 000000009E40: D1D300BD 06F6371A
	v_max3_f32 v189, v28, v29, v189                            // 000000009E48: D1D300BD 06F63B1C
	v_max3_f32 v189, v30, v31, v189                            // 000000009E50: D1D300BD 06F63F1E
	v_max3_f32 v189, v32, v33, v189                            // 000000009E58: D1D300BD 06F64320
	v_max3_f32 v189, v34, v35, v189                            // 000000009E60: D1D300BD 06F64722
	v_mov_b32_e32 v188, v4                                     // 000000009E68: 7F780304
	v_max3_f32 v188, v4, v5, v188                              // 000000009E6C: D1D300BC 06F20B04
	v_max3_f32 v188, v6, v7, v188                              // 000000009E74: D1D300BC 06F20F06
	v_max3_f32 v188, v8, v9, v188                              // 000000009E7C: D1D300BC 06F21308
	v_max3_f32 v188, v10, v11, v188                            // 000000009E84: D1D300BC 06F2170A
	v_max3_f32 v188, v12, v13, v188                            // 000000009E8C: D1D300BC 06F21B0C
	v_max3_f32 v188, v14, v15, v188                            // 000000009E94: D1D300BC 06F21F0E
	v_max3_f32 v188, v16, v17, v188                            // 000000009E9C: D1D300BC 06F22310
	v_max3_f32 v188, v18, v19, v188                            // 000000009EA4: D1D300BC 06F22712
	v_max_f32_dpp v190, v190, v190 row_ror:8 row_mask:0xf bank_mask:0xf// 000000009EAC: 177D7CFA FF0128BE
	v_pk_mul_f32 v[124:125], v[200:201], v[124:125]            // 000000009EB4: D3B1407C 1802F9C8
	v_pk_mul_f32 v[126:127], v[200:201], v[126:127]            // 000000009EBC: D3B1407E 1802FDC8
	v_pk_mul_f32 v[128:129], v[200:201], v[128:129]            // 000000009EC4: D3B14080 180301C8
	v_pk_mul_f32 v[130:131], v[200:201], v[130:131]            // 000000009ECC: D3B14082 180305C8
	v_pk_mul_f32 v[132:133], v[202:203], v[132:133]            // 000000009ED4: D3B14084 180309CA
	v_pk_mul_f32 v[134:135], v[202:203], v[134:135]            // 000000009EDC: D3B14086 18030DCA
	v_pk_mul_f32 v[136:137], v[202:203], v[136:137]            // 000000009EE4: D3B14088 180311CA
	v_pk_mul_f32 v[138:139], v[202:203], v[138:139]            // 000000009EEC: D3B1408A 180315CA
	v_pk_mul_f32 v[140:141], v[204:205], v[140:141]            // 000000009EF4: D3B1408C 180319CC
	v_pk_mul_f32 v[142:143], v[204:205], v[142:143]            // 000000009EFC: D3B1408E 18031DCC
	v_pk_mul_f32 v[144:145], v[204:205], v[144:145]            // 000000009F04: D3B14090 180321CC
	v_pk_mul_f32 v[146:147], v[204:205], v[146:147]            // 000000009F0C: D3B14092 180325CC
	ds_bpermute_b32 v172, v212, v188                           // 000000009F14: D87E0000 AC00BCD4
	ds_bpermute_b32 v173, v213, v188                           // 000000009F1C: D87E0000 AD00BCD5
	ds_bpermute_b32 v174, v214, v188                           // 000000009F24: D87E0000 AE00BCD6
	ds_bpermute_b32 v175, v212, v189                           // 000000009F2C: D87E0000 AF00BDD4
	ds_bpermute_b32 v176, v213, v189                           // 000000009F34: D87E0000 B000BDD5
	ds_bpermute_b32 v177, v214, v189                           // 000000009F3C: D87E0000 B100BDD6
	ds_bpermute_b32 v178, v212, v190                           // 000000009F44: D87E0000 B200BED4
	ds_bpermute_b32 v179, v213, v190                           // 000000009F4C: D87E0000 B300BED5
	ds_bpermute_b32 v180, v214, v190                           // 000000009F54: D87E0000 B400BED6
	s_waitcnt lgkmcnt(6)                                       // 000000009F5C: BF8CC67F
	v_max3_f32 v188, v172, v173, v188                          // 000000009F60: D1D300BC 06F35BAC
	v_max_f32_e32 v188, v174, v188                             // 000000009F68: 177979AE
	s_waitcnt lgkmcnt(3)                                       // 000000009F6C: BF8CC37F
	v_max3_f32 v189, v175, v176, v189                          // 000000009F70: D1D300BD 06F761AF
	v_max_f32_e32 v189, v177, v189                             // 000000009F78: 177B7BB1
	s_waitcnt lgkmcnt(0)                                       // 000000009F7C: BF8CC07F
	v_max3_f32 v190, v178, v179, v190                          // 000000009F80: D1D300BE 06FB67B2
	v_max_f32_e32 v190, v180, v190                             // 000000009F88: 177D7DB4
	ds_write_b128 v252, v[188:191]                             // 000000009F8C: D9BE0000 0000BCFC
	s_waitcnt lgkmcnt(0)                                       // 000000009F94: BF8CC07F
	s_barrier                                                  // 000000009F98: BF8A0000
	v_pk_mul_f32 v[100:101], v[158:159], v[100:101]            // 000000009F9C: D3B14064 1802C99E
	v_pk_mul_f32 v[102:103], v[158:159], v[102:103]            // 000000009FA4: D3B14066 1802CD9E
	v_pk_mul_f32 v[104:105], v[158:159], v[104:105]            // 000000009FAC: D3B14068 1802D19E
	v_pk_mul_f32 v[106:107], v[158:159], v[106:107]            // 000000009FB4: D3B1406A 1802D59E
	v_pk_mul_f32 v[108:109], v[160:161], v[108:109]            // 000000009FBC: D3B1406C 1802D9A0
	v_pk_mul_f32 v[110:111], v[160:161], v[110:111]            // 000000009FC4: D3B1406E 1802DDA0
	v_pk_mul_f32 v[112:113], v[160:161], v[112:113]            // 000000009FCC: D3B14070 1802E1A0
	v_pk_mul_f32 v[114:115], v[160:161], v[114:115]            // 000000009FD4: D3B14072 1802E5A0
	v_pk_mul_f32 v[116:117], v[162:163], v[116:117]            // 000000009FDC: D3B14074 1802E9A2
	v_pk_mul_f32 v[118:119], v[162:163], v[118:119]            // 000000009FE4: D3B14076 1802EDA2
	v_pk_mul_f32 v[120:121], v[162:163], v[120:121]            // 000000009FEC: D3B14078 1802F1A2
	v_pk_mul_f32 v[122:123], v[162:163], v[122:123]            // 000000009FF4: D3B1407A 1802F5A2
	ds_read_b128 v[172:175], v253                              // 000000009FFC: D9FE0000 AC0000FD
	ds_read_b128 v[176:179], v253 offset:256                   // 00000000A004: D9FE0100 B00000FD
	ds_read_b128 v[180:183], v253 offset:512                   // 00000000A00C: D9FE0200 B40000FD
	ds_read_b128 v[184:187], v253 offset:768                   // 00000000A014: D9FE0300 B80000FD
	s_waitcnt lgkmcnt(0)                                       // 00000000A01C: BF8CC07F
	v_max3_f32 v188, v172, v176, v188                          // 00000000A020: D1D300BC 06F361AC
	v_max3_f32 v189, v173, v177, v189                          // 00000000A028: D1D300BD 06F763AD
	v_max3_f32 v190, v174, v178, v190                          // 00000000A030: D1D300BE 06FB65AE
	v_max3_f32 v188, v180, v184, v188                          // 00000000A038: D1D300BC 06F371B4
	v_max3_f32 v189, v181, v185, v189                          // 00000000A040: D1D300BD 06F773B5
	v_max3_f32 v190, v182, v186, v190                          // 00000000A048: D1D300BE 06FB75B6
	v_max_f32_e32 v197, v188, v194                             // 00000000A050: 178B85BC
	v_mul_f32_e64 v168, -s46, v197                             // 00000000A054: D10500A8 20038A2E
	v_mov_b32_e32 v169, v168                                   // 00000000A05C: 7F5203A8
	v_pk_fma_f32 v[4:5], v[4:5], s[46:47], v[168:169]          // 00000000A060: D3B04004 1EA05D04
	v_pk_fma_f32 v[6:7], v[6:7], s[46:47], v[168:169]          // 00000000A068: D3B04006 1EA05D06
	v_exp_f32_e32 v4, v4                                       // 00000000A070: 7E084104
	v_exp_f32_e32 v5, v5                                       // 00000000A074: 7E0A4105
	v_exp_f32_e32 v6, v6                                       // 00000000A078: 7E0C4106
	v_exp_f32_e32 v7, v7                                       // 00000000A07C: 7E0E4107
	v_pk_fma_f32 v[8:9], v[8:9], s[46:47], v[168:169]          // 00000000A080: D3B04008 1EA05D08
	v_pk_fma_f32 v[10:11], v[10:11], s[46:47], v[168:169]      // 00000000A088: D3B0400A 1EA05D0A
	v_exp_f32_e32 v8, v8                                       // 00000000A090: 7E104108
	v_exp_f32_e32 v9, v9                                       // 00000000A094: 7E124109
	v_exp_f32_e32 v10, v10                                     // 00000000A098: 7E14410A
	v_exp_f32_e32 v11, v11                                     // 00000000A09C: 7E16410B
	v_pk_fma_f32 v[12:13], v[12:13], s[46:47], v[168:169]      // 00000000A0A0: D3B0400C 1EA05D0C
	v_pk_fma_f32 v[14:15], v[14:15], s[46:47], v[168:169]      // 00000000A0A8: D3B0400E 1EA05D0E
	v_exp_f32_e32 v12, v12                                     // 00000000A0B0: 7E18410C
	v_exp_f32_e32 v13, v13                                     // 00000000A0B4: 7E1A410D
	v_exp_f32_e32 v14, v14                                     // 00000000A0B8: 7E1C410E
	v_exp_f32_e32 v15, v15                                     // 00000000A0BC: 7E1E410F
	v_pk_fma_f32 v[16:17], v[16:17], s[46:47], v[168:169]      // 00000000A0C0: D3B04010 1EA05D10
	v_pk_fma_f32 v[18:19], v[18:19], s[46:47], v[168:169]      // 00000000A0C8: D3B04012 1EA05D12
	v_exp_f32_e32 v16, v16                                     // 00000000A0D0: 7E204110
	v_exp_f32_e32 v17, v17                                     // 00000000A0D4: 7E224111
	v_exp_f32_e32 v18, v18                                     // 00000000A0D8: 7E244112
	v_exp_f32_e32 v19, v19                                     // 00000000A0DC: 7E264113
	v_max_f32_e32 v198, v189, v195                             // 00000000A0E0: 178D87BD
	v_mul_f32_e64 v168, -s46, v198                             // 00000000A0E4: D10500A8 20038C2E
	v_mov_b32_e32 v169, v168                                   // 00000000A0EC: 7F5203A8
	v_pk_fma_f32 v[20:21], v[20:21], s[46:47], v[168:169]      // 00000000A0F0: D3B04014 1EA05D14
	v_pk_fma_f32 v[22:23], v[22:23], s[46:47], v[168:169]      // 00000000A0F8: D3B04016 1EA05D16
	v_exp_f32_e32 v20, v20                                     // 00000000A100: 7E284114
	v_exp_f32_e32 v21, v21                                     // 00000000A104: 7E2A4115
	v_exp_f32_e32 v22, v22                                     // 00000000A108: 7E2C4116
	v_exp_f32_e32 v23, v23                                     // 00000000A10C: 7E2E4117
	v_pk_fma_f32 v[24:25], v[24:25], s[46:47], v[168:169]      // 00000000A110: D3B04018 1EA05D18
	v_pk_fma_f32 v[26:27], v[26:27], s[46:47], v[168:169]      // 00000000A118: D3B0401A 1EA05D1A
	v_exp_f32_e32 v24, v24                                     // 00000000A120: 7E304118
	v_exp_f32_e32 v25, v25                                     // 00000000A124: 7E324119
	v_exp_f32_e32 v26, v26                                     // 00000000A128: 7E34411A
	v_exp_f32_e32 v27, v27                                     // 00000000A12C: 7E36411B
	v_pk_fma_f32 v[28:29], v[28:29], s[46:47], v[168:169]      // 00000000A130: D3B0401C 1EA05D1C
	v_pk_fma_f32 v[30:31], v[30:31], s[46:47], v[168:169]      // 00000000A138: D3B0401E 1EA05D1E
	v_exp_f32_e32 v28, v28                                     // 00000000A140: 7E38411C
	v_exp_f32_e32 v29, v29                                     // 00000000A144: 7E3A411D
	v_exp_f32_e32 v30, v30                                     // 00000000A148: 7E3C411E
	v_exp_f32_e32 v31, v31                                     // 00000000A14C: 7E3E411F
	v_pk_fma_f32 v[32:33], v[32:33], s[46:47], v[168:169]      // 00000000A150: D3B04020 1EA05D20
	v_pk_fma_f32 v[34:35], v[34:35], s[46:47], v[168:169]      // 00000000A158: D3B04022 1EA05D22
	v_exp_f32_e32 v32, v32                                     // 00000000A160: 7E404120
	v_exp_f32_e32 v33, v33                                     // 00000000A164: 7E424121
	v_exp_f32_e32 v34, v34                                     // 00000000A168: 7E444122
	v_exp_f32_e32 v35, v35                                     // 00000000A16C: 7E464123
	v_max_f32_e32 v199, v190, v196                             // 00000000A170: 178F89BE
	v_mul_f32_e64 v168, -s46, v199                             // 00000000A174: D10500A8 20038E2E
	v_mov_b32_e32 v169, v168                                   // 00000000A17C: 7F5203A8
	v_pk_fma_f32 v[36:37], v[36:37], s[46:47], v[168:169]      // 00000000A180: D3B04024 1EA05D24
	v_pk_fma_f32 v[38:39], v[38:39], s[46:47], v[168:169]      // 00000000A188: D3B04026 1EA05D26
	v_exp_f32_e32 v36, v36                                     // 00000000A190: 7E484124
	v_exp_f32_e32 v37, v37                                     // 00000000A194: 7E4A4125
	v_exp_f32_e32 v38, v38                                     // 00000000A198: 7E4C4126
	v_exp_f32_e32 v39, v39                                     // 00000000A19C: 7E4E4127
	v_pk_fma_f32 v[40:41], v[40:41], s[46:47], v[168:169]      // 00000000A1A0: D3B04028 1EA05D28
	v_pk_fma_f32 v[42:43], v[42:43], s[46:47], v[168:169]      // 00000000A1A8: D3B0402A 1EA05D2A
	v_exp_f32_e32 v40, v40                                     // 00000000A1B0: 7E504128
	v_exp_f32_e32 v41, v41                                     // 00000000A1B4: 7E524129
	v_exp_f32_e32 v42, v42                                     // 00000000A1B8: 7E54412A
	v_exp_f32_e32 v43, v43                                     // 00000000A1BC: 7E56412B
	v_mul_f32_e32 v52, v157, v4                                // 00000000A1C0: 0A68099D
	v_mul_f32_e32 v53, v157, v5                                // 00000000A1C4: 0A6A0B9D
	v_mul_f32_e32 v54, v157, v6                                // 00000000A1C8: 0A6C0D9D
	v_mul_f32_e32 v55, v157, v7                                // 00000000A1CC: 0A6E0F9D
	v_mul_f32_e32 v56, v157, v8                                // 00000000A1D0: 0A70119D
	v_mul_f32_e32 v57, v157, v9                                // 00000000A1D4: 0A72139D
	v_mul_f32_e32 v58, v157, v10                               // 00000000A1D8: 0A74159D
	v_mul_f32_e32 v59, v157, v11                               // 00000000A1DC: 0A76179D
	v_mul_f32_e32 v60, v157, v12                               // 00000000A1E0: 0A78199D
	v_mul_f32_e32 v61, v157, v13                               // 00000000A1E4: 0A7A1B9D
	v_mul_f32_e32 v62, v157, v14                               // 00000000A1E8: 0A7C1D9D
	v_mul_f32_e32 v63, v157, v15                               // 00000000A1EC: 0A7E1F9D
	v_mul_f32_e32 v64, v157, v16                               // 00000000A1F0: 0A80219D
	v_mul_f32_e32 v65, v157, v17                               // 00000000A1F4: 0A82239D
	v_mul_f32_e32 v66, v157, v18                               // 00000000A1F8: 0A84259D
	v_mul_f32_e32 v67, v157, v19                               // 00000000A1FC: 0A86279D
	v_mul_f32_e32 v68, v157, v20                               // 00000000A200: 0A88299D
	v_mul_f32_e32 v69, v157, v21                               // 00000000A204: 0A8A2B9D
	v_mul_f32_e32 v70, v157, v22                               // 00000000A208: 0A8C2D9D
	v_mul_f32_e32 v71, v157, v23                               // 00000000A20C: 0A8E2F9D
	v_mul_f32_e32 v72, v157, v24                               // 00000000A210: 0A90319D
	v_mul_f32_e32 v73, v157, v25                               // 00000000A214: 0A92339D
	v_mul_f32_e32 v74, v157, v26                               // 00000000A218: 0A94359D
	v_mul_f32_e32 v75, v157, v27                               // 00000000A21C: 0A96379D
	v_mul_f32_e32 v76, v157, v28                               // 00000000A220: 0A98399D
	v_mul_f32_e32 v77, v157, v29                               // 00000000A224: 0A9A3B9D
	v_mul_f32_e32 v78, v157, v30                               // 00000000A228: 0A9C3D9D
	v_mul_f32_e32 v79, v157, v31                               // 00000000A22C: 0A9E3F9D
	v_mul_f32_e32 v80, v157, v32                               // 00000000A230: 0AA0419D
	v_mul_f32_e32 v81, v157, v33                               // 00000000A234: 0AA2439D
	v_mul_f32_e32 v82, v157, v34                               // 00000000A238: 0AA4459D
	v_mul_f32_e32 v83, v157, v35                               // 00000000A23C: 0AA6479D
	v_mul_f32_e32 v84, v157, v36                               // 00000000A240: 0AA8499D
	v_mul_f32_e32 v85, v157, v37                               // 00000000A244: 0AAA4B9D
	v_mul_f32_e32 v86, v157, v38                               // 00000000A248: 0AAC4D9D
	v_mul_f32_e32 v87, v157, v39                               // 00000000A24C: 0AAE4F9D
	v_mul_f32_e32 v88, v157, v40                               // 00000000A250: 0AB0519D
	v_mul_f32_e32 v89, v157, v41                               // 00000000A254: 0AB2539D
	v_mul_f32_e32 v90, v157, v42                               // 00000000A258: 0AB4559D
	v_mul_f32_e32 v91, v157, v43                               // 00000000A25C: 0AB6579D
	buffer_load_dword v154, v238, s[20:23], 0 offen            // 00000000A260: E0501000 80059AEE
	v_sub_f32_e32 v200, v194, v197                             // 00000000A268: 05918BC2
	v_cmp_eq_u32_e64 s[98:99], v225, v194                      // 00000000A26C: D0CA0062 000385E1
	v_cndmask_b32_e64 v200, v200, 0, s[98:99]                  // 00000000A274: D10000C8 018901C8
	v_mov_b32_e32 v194, v197                                   // 00000000A27C: 7F8403C5
	v_mul_f32_e32 v200, s46, v200                              // 00000000A280: 0B91902E
	v_exp_f32_e32 v200, v200                                   // 00000000A284: 7F9041C8
	v_sub_f32_e32 v202, v195, v198                             // 00000000A288: 05958DC3
	v_cmp_eq_u32_e64 s[98:99], v225, v195                      // 00000000A28C: D0CA0062 000387E1
	v_cndmask_b32_e64 v202, v202, 0, s[98:99]                  // 00000000A294: D10000CA 018901CA
	v_mov_b32_e32 v195, v198                                   // 00000000A29C: 7F8603C6
	v_mul_f32_e32 v202, s46, v202                              // 00000000A2A0: 0B95942E
	v_exp_f32_e32 v202, v202                                   // 00000000A2A4: 7F9441CA
	v_sub_f32_e32 v204, v196, v199                             // 00000000A2A8: 05998FC4
	v_cmp_eq_u32_e64 s[98:99], v225, v196                      // 00000000A2AC: D0CA0062 000389E1
	v_cndmask_b32_e64 v204, v204, 0, s[98:99]                  // 00000000A2B4: D10000CC 018901CC
	v_mov_b32_e32 v196, v199                                   // 00000000A2BC: 7F8803C7
	v_mul_f32_e32 v204, s46, v204                              // 00000000A2C0: 0B99982E
	v_exp_f32_e32 v204, v204                                   // 00000000A2C4: 7F9841CC
	v_mov_b32_e32 v201, v200                                   // 00000000A2C8: 7F9203C8
	v_mov_b32_e32 v203, v202                                   // 00000000A2CC: 7F9603CA
	v_mov_b32_e32 v205, v204                                   // 00000000A2D0: 7F9A03CC
	s_waitcnt lgkmcnt(0)                                       // 00000000A2D4: BF8CC07F
	s_barrier                                                  // 00000000A2D8: BF8A0000
	buffer_load_dword v156, v239, s[24:27], 0 offen            // 00000000A2DC: E0501000 80069CEF
	v_mul_f32_e32 v206, v200, v206                             // 00000000A2E4: 0B9D9DC8
	v_mov_b32_e32 v207, 0                                      // 00000000A2E8: 7F9E0280
	v_pk_add_f32 v[206:207], v[4:5], v[206:207]                // 00000000A2EC: D3B240CE 18039D04
	v_pk_add_f32 v[206:207], v[6:7], v[206:207]                // 00000000A2F4: D3B240CE 18039D06
	v_pk_add_f32 v[206:207], v[8:9], v[206:207]                // 00000000A2FC: D3B240CE 18039D08
	v_pk_add_f32 v[206:207], v[10:11], v[206:207]              // 00000000A304: D3B240CE 18039D0A
	v_pk_add_f32 v[206:207], v[12:13], v[206:207]              // 00000000A30C: D3B240CE 18039D0C
	v_pk_add_f32 v[206:207], v[14:15], v[206:207]              // 00000000A314: D3B240CE 18039D0E
	v_pk_add_f32 v[206:207], v[16:17], v[206:207]              // 00000000A31C: D3B240CE 18039D10
	v_pk_add_f32 v[206:207], v[18:19], v[206:207]              // 00000000A324: D3B240CE 18039D12
	v_add_f32_e32 v206, v207, v206                             // 00000000A32C: 039D9DCF
	v_mul_f32_e32 v208, v202, v208                             // 00000000A330: 0BA1A1CA
	v_mov_b32_e32 v209, 0                                      // 00000000A334: 7FA20280
	v_pk_add_f32 v[208:209], v[20:21], v[208:209]              // 00000000A338: D3B240D0 1803A114
	v_pk_add_f32 v[208:209], v[22:23], v[208:209]              // 00000000A340: D3B240D0 1803A116
	v_pk_add_f32 v[208:209], v[24:25], v[208:209]              // 00000000A348: D3B240D0 1803A118
	v_pk_add_f32 v[208:209], v[26:27], v[208:209]              // 00000000A350: D3B240D0 1803A11A
	v_pk_add_f32 v[208:209], v[28:29], v[208:209]              // 00000000A358: D3B240D0 1803A11C
	v_pk_add_f32 v[208:209], v[30:31], v[208:209]              // 00000000A360: D3B240D0 1803A11E
	v_pk_add_f32 v[208:209], v[32:33], v[208:209]              // 00000000A368: D3B240D0 1803A120
	v_pk_add_f32 v[208:209], v[34:35], v[208:209]              // 00000000A370: D3B240D0 1803A122
	v_add_f32_e32 v208, v209, v208                             // 00000000A378: 03A1A1D1
	v_mul_f32_e32 v210, v204, v210                             // 00000000A37C: 0BA5A5CC
	v_mov_b32_e32 v211, 0                                      // 00000000A380: 7FA60280
	v_pk_add_f32 v[210:211], v[36:37], v[210:211]              // 00000000A384: D3B240D2 1803A524
	v_pk_add_f32 v[210:211], v[38:39], v[210:211]              // 00000000A38C: D3B240D2 1803A526
	v_pk_add_f32 v[210:211], v[40:41], v[210:211]              // 00000000A394: D3B240D2 1803A528
	v_pk_add_f32 v[210:211], v[42:43], v[210:211]              // 00000000A39C: D3B240D2 1803A52A
	v_add_f32_e32 v210, v211, v210                             // 00000000A3A4: 03A5A5D3
	s_waitcnt lgkmcnt(0)                                       // 00000000A3A8: BF8CC07F
	v_sub_f32_e32 v188, v188, v194                             // 00000000A3AC: 057985BC
	v_sub_f32_e32 v189, v189, v195                             // 00000000A3B0: 057B87BD
	v_sub_f32_e32 v190, v190, v196                             // 00000000A3B4: 057D89BE
	v_mul_f32_e32 v188, s46, v188                              // 00000000A3B8: 0B79782E
	v_mul_f32_e32 v189, s46, v189                              // 00000000A3BC: 0B7B7A2E
	v_mul_f32_e32 v190, s46, v190                              // 00000000A3C0: 0B7D7C2E
	v_exp_f32_e32 v188, v188                                   // 00000000A3C4: 7F7841BC
	v_exp_f32_e32 v189, v189                                   // 00000000A3C8: 7F7A41BD
	v_exp_f32_e32 v190, v190                                   // 00000000A3CC: 7F7C41BE
	v_mul_f32_e32 v188, v157, v188                             // 00000000A3D0: 0B79799D
	v_mul_f32_e32 v189, v157, v189                             // 00000000A3D4: 0B7B7B9D
	v_mul_f32_e32 v190, v157, v190                             // 00000000A3D8: 0B7D7D9D
	v_add_f32_e32 v188, 0x3089705f, v188                       // 00000000A3DC: 037978FF 3089705F
	v_add_f32_e32 v189, 0x3089705f, v189                       // 00000000A3E4: 037B7AFF 3089705F
	v_add_f32_e32 v190, 0x3089705f, v190                       // 00000000A3EC: 037D7CFF 3089705F
	v_rcp_f32_e32 v188, v188                                   // 00000000A3F4: 7F7845BC
	v_rcp_f32_e32 v189, v189                                   // 00000000A3F8: 7F7A45BD
	v_rcp_f32_e32 v190, v190                                   // 00000000A3FC: 7F7C45BE
	v_mul_f32_e32 v188, 0x43700000, v188                       // 00000000A400: 0B7978FF 43700000
	v_mul_f32_e32 v189, 0x43700000, v189                       // 00000000A408: 0B7B7AFF 43700000
	v_mul_f32_e32 v190, 0x43700000, v190                       // 00000000A410: 0B7D7CFF 43700000
	v_mov_b32_e32 v192, v190                                   // 00000000A418: 7F8003BE
	v_mov_b32_e32 v193, v190                                   // 00000000A41C: 7F8203BE
	v_mov_b32_e32 v190, v189                                   // 00000000A420: 7F7C03BD
	v_mov_b32_e32 v191, v189                                   // 00000000A424: 7F7E03BD
	v_mov_b32_e32 v189, v188                                   // 00000000A428: 7F7A03BC
	v_pk_mul_f32 v[4:5], v[188:189], v[52:53]                  // 00000000A42C: D3B14004 180269BC
	v_pk_mul_f32 v[6:7], v[188:189], v[54:55]                  // 00000000A434: D3B14006 18026DBC
	v_pk_mul_f32 v[8:9], v[188:189], v[56:57]                  // 00000000A43C: D3B14008 180271BC
	v_pk_mul_f32 v[10:11], v[188:189], v[58:59]                // 00000000A444: D3B1400A 180275BC
	v_pk_mul_f32 v[12:13], v[188:189], v[60:61]                // 00000000A44C: D3B1400C 180279BC
	v_pk_mul_f32 v[14:15], v[188:189], v[62:63]                // 00000000A454: D3B1400E 18027DBC
	v_pk_mul_f32 v[16:17], v[188:189], v[64:65]                // 00000000A45C: D3B14010 180281BC
	v_pk_mul_f32 v[18:19], v[188:189], v[66:67]                // 00000000A464: D3B14012 180285BC
	v_pk_mul_f32 v[20:21], v[190:191], v[68:69]                // 00000000A46C: D3B14014 180289BE
	v_pk_mul_f32 v[22:23], v[190:191], v[70:71]                // 00000000A474: D3B14016 18028DBE
	v_pk_mul_f32 v[24:25], v[190:191], v[72:73]                // 00000000A47C: D3B14018 180291BE
	v_pk_mul_f32 v[26:27], v[190:191], v[74:75]                // 00000000A484: D3B1401A 180295BE
	v_pk_mul_f32 v[28:29], v[190:191], v[76:77]                // 00000000A48C: D3B1401C 180299BE
	v_pk_mul_f32 v[30:31], v[190:191], v[78:79]                // 00000000A494: D3B1401E 18029DBE
	v_pk_mul_f32 v[32:33], v[190:191], v[80:81]                // 00000000A49C: D3B14020 1802A1BE
	v_pk_mul_f32 v[34:35], v[190:191], v[82:83]                // 00000000A4A4: D3B14022 1802A5BE
	v_pk_mul_f32 v[36:37], v[192:193], v[84:85]                // 00000000A4AC: D3B14024 1802A9C0
	v_pk_mul_f32 v[38:39], v[192:193], v[86:87]                // 00000000A4B4: D3B14026 1802ADC0
	v_pk_mul_f32 v[40:41], v[192:193], v[88:89]                // 00000000A4BC: D3B14028 1802B1C0
	v_pk_mul_f32 v[42:43], v[192:193], v[90:91]                // 00000000A4C4: D3B1402A 1802B5C0
	v_cvt_pk_fp8_f32 v4, v4, v5                                // 00000000A4CC: D2A20004 00020B04
	v_cvt_pk_fp8_f32 v4, v6, v7 op_sel:[0,0,1]                 // 00000000A4D4: D2A24004 00020F06
	v_cvt_pk_fp8_f32 v5, v8, v9                                // 00000000A4DC: D2A20005 00021308
	v_cvt_pk_fp8_f32 v5, v10, v11 op_sel:[0,0,1]               // 00000000A4E4: D2A24005 0002170A
	v_cvt_pk_fp8_f32 v6, v12, v13                              // 00000000A4EC: D2A20006 00021B0C
	v_cvt_pk_fp8_f32 v6, v14, v15 op_sel:[0,0,1]               // 00000000A4F4: D2A24006 00021F0E
	v_cvt_pk_fp8_f32 v7, v16, v17                              // 00000000A4FC: D2A20007 00022310
	v_cvt_pk_fp8_f32 v7, v18, v19 op_sel:[0,0,1]               // 00000000A504: D2A24007 00022712
	v_cvt_pk_fp8_f32 v8, v20, v21                              // 00000000A50C: D2A20008 00022B14
	v_cvt_pk_fp8_f32 v8, v22, v23 op_sel:[0,0,1]               // 00000000A514: D2A24008 00022F16
	v_cvt_pk_fp8_f32 v9, v24, v25                              // 00000000A51C: D2A20009 00023318
	v_cvt_pk_fp8_f32 v9, v26, v27 op_sel:[0,0,1]               // 00000000A524: D2A24009 0002371A
	v_cvt_pk_fp8_f32 v10, v28, v29                             // 00000000A52C: D2A2000A 00023B1C
	v_cvt_pk_fp8_f32 v10, v30, v31 op_sel:[0,0,1]              // 00000000A534: D2A2400A 00023F1E
	v_cvt_pk_fp8_f32 v11, v32, v33                             // 00000000A53C: D2A2000B 00024320
	v_cvt_pk_fp8_f32 v11, v34, v35 op_sel:[0,0,1]              // 00000000A544: D2A2400B 00024722
	v_cvt_pk_fp8_f32 v12, v36, v37                             // 00000000A54C: D2A2000C 00024B24
	v_cvt_pk_fp8_f32 v12, v38, v39 op_sel:[0,0,1]              // 00000000A554: D2A2400C 00024F26
	v_cvt_pk_fp8_f32 v13, v40, v41                             // 00000000A55C: D2A2000D 00025328
	v_cvt_pk_fp8_f32 v13, v42, v43 op_sel:[0,0,1]              // 00000000A564: D2A2400D 0002572A
	v_mov_b32_dpp v14, v12 row_shl:8 row_mask:0xf bank_mask:0xf bound_ctrl:1// 00000000A56C: 7E1C02FA FF09080C
	v_and_b32_e32 v12, v12, v224                               // 00000000A574: 2619C10C
	v_mov_b32_dpp v15, v13 row_shl:8 row_mask:0xf bank_mask:0xf bound_ctrl:1// 00000000A578: 7E1E02FA FF09080D
	v_and_b32_e32 v13, v13, v224                               // 00000000A580: 261BC10D
	ds_write_b32 v254, v4 offset:8192                          // 00000000A584: D81A2000 000004FE
	ds_write_b32 v254, v5 offset:9216                          // 00000000A58C: D81A2400 000005FE
	ds_write_b32 v254, v6 offset:10240                         // 00000000A594: D81A2800 000006FE
	ds_write_b32 v254, v7 offset:11264                         // 00000000A59C: D81A2C00 000007FE
	ds_write_b32 v254, v8 offset:12288                         // 00000000A5A4: D81A3000 000008FE
	ds_write_b32 v254, v9 offset:13312                         // 00000000A5AC: D81A3400 000009FE
	ds_write_b32 v254, v10 offset:14336                        // 00000000A5B4: D81A3800 00000AFE
	ds_write_b32 v254, v11 offset:15360                        // 00000000A5BC: D81A3C00 00000BFE
	ds_write_b32 v254, v12 offset:16384                        // 00000000A5C4: D81A4000 00000CFE
	ds_write_b32 v254, v13 offset:17408                        // 00000000A5CC: D81A4400 00000DFE
	ds_write_b32 v254, v14 offset:18432                        // 00000000A5D4: D81A4800 00000EFE
	ds_write_b32 v254, v15 offset:19456                        // 00000000A5DC: D81A4C00 00000FFE
	v_rcp_f32_e32 v158, v188                                   // 00000000A5E4: 7F3C45BC
	v_rcp_f32_e32 v160, v190                                   // 00000000A5E8: 7F4045BE
	v_rcp_f32_e32 v162, v192                                   // 00000000A5EC: 7F4445C0
	v_mov_b32_e32 v159, v158                                   // 00000000A5F0: 7F3E039E
	v_mov_b32_e32 v161, v160                                   // 00000000A5F4: 7F4203A0
	v_mov_b32_e32 v163, v162                                   // 00000000A5F8: 7F4603A2
	v_pk_add_f32 v[124:125], v[124:125], v[100:101]            // 00000000A5FC: D3B2407C 1802C97C
	v_pk_add_f32 v[126:127], v[126:127], v[102:103]            // 00000000A604: D3B2407E 1802CD7E
	v_pk_add_f32 v[128:129], v[128:129], v[104:105]            // 00000000A60C: D3B24080 1802D180
	v_pk_add_f32 v[130:131], v[130:131], v[106:107]            // 00000000A614: D3B24082 1802D582
	v_pk_add_f32 v[132:133], v[132:133], v[108:109]            // 00000000A61C: D3B24084 1802D984
	v_pk_add_f32 v[134:135], v[134:135], v[110:111]            // 00000000A624: D3B24086 1802DD86
	v_pk_add_f32 v[136:137], v[136:137], v[112:113]            // 00000000A62C: D3B24088 1802E188
	v_pk_add_f32 v[138:139], v[138:139], v[114:115]            // 00000000A634: D3B2408A 1802E58A
	v_pk_add_f32 v[140:141], v[140:141], v[116:117]            // 00000000A63C: D3B2408C 1802E98C
	v_pk_add_f32 v[142:143], v[142:143], v[118:119]            // 00000000A644: D3B2408E 1802ED8E
	v_pk_add_f32 v[144:145], v[144:145], v[120:121]            // 00000000A64C: D3B24090 1802F190
	v_pk_add_f32 v[146:147], v[146:147], v[122:123]            // 00000000A654: D3B24092 1802F592
	s_waitcnt lgkmcnt(0)                                       // 00000000A65C: BF8CC07F
	s_barrier                                                  // 00000000A660: BF8A0000
	ds_read_b128 v[4:7], v255 offset:8192                      // 00000000A664: D9FE2000 040000FF
	ds_read_b128 v[8:11], v255 offset:9216                     // 00000000A66C: D9FE2400 080000FF
	ds_read_b128 v[12:15], v255 offset:10240                   // 00000000A674: D9FE2800 0C0000FF
	ds_read_b128 v[16:19], v255 offset:11264                   // 00000000A67C: D9FE2C00 100000FF
	ds_read_b128 v[20:23], v255 offset:12288                   // 00000000A684: D9FE3000 140000FF
	ds_read_b128 v[24:27], v255 offset:13312                   // 00000000A68C: D9FE3400 180000FF
	ds_read_b128 v[28:31], v255 offset:14336                   // 00000000A694: D9FE3800 1C0000FF
	ds_read_b128 v[32:35], v255 offset:15360                   // 00000000A69C: D9FE3C00 200000FF
	ds_read_b128 v[36:39], v255 offset:16384                   // 00000000A6A4: D9FE4000 240000FF
	ds_read_b128 v[40:43], v255 offset:17408                   // 00000000A6AC: D9FE4400 280000FF
	ds_read_b128 v[44:47], v255 offset:18432                   // 00000000A6B4: D9FE4800 2C0000FF
	ds_read_b128 v[48:51], v255 offset:19456                   // 00000000A6BC: D9FE4C00 300000FF
	s_waitcnt vmcnt(10)                                        // 00000000A6C4: BF8C0F7A
	s_waitcnt lgkmcnt(11)                                      // 00000000A6C8: BF8CCB7F
	v_mfma_f32_16x16x32_fp8_fp8 v[100:103], a[120:121], v[4:5], 0// 00000000A6CC: D3F30064 0A020978
	v_mfma_f32_16x16x32_fp8_fp8 v[104:107], a[136:137], v[4:5], 0// 00000000A6D4: D3F30068 0A020988
	v_mfma_f32_16x16x32_fp8_fp8 v[100:103], a[122:123], v[6:7], v[100:103]// 00000000A6DC: D3F30064 0D920D7A
	buffer_load_dwordx4 a[88:91], v234, s[16:19], 0 offen      // 00000000A6E4: E05C1000 808458EA
	v_mfma_f32_16x16x32_fp8_fp8 v[104:107], a[138:139], v[6:7], v[104:107]// 00000000A6EC: D3F30068 0DA20D8A
	s_waitcnt lgkmcnt(10)                                      // 00000000A6F4: BF8CCA7F
	v_mfma_f32_16x16x32_fp8_fp8 v[100:103], a[124:125], v[8:9], v[100:103]// 00000000A6F8: D3F30064 0D92117C
	v_mfma_f32_16x16x32_fp8_fp8 v[104:107], a[140:141], v[8:9], v[104:107]// 00000000A700: D3F30068 0DA2118C
	v_mfma_f32_16x16x32_fp8_fp8 v[100:103], a[126:127], v[10:11], v[100:103]// 00000000A708: D3F30064 0D92157E
	buffer_load_dwordx4 a[92:95], v235, s[16:19], 0 offen      // 00000000A710: E05C1000 80845CEB
	v_mfma_f32_16x16x32_fp8_fp8 v[104:107], a[142:143], v[10:11], v[104:107]// 00000000A718: D3F30068 0DA2158E
	s_waitcnt lgkmcnt(9)                                       // 00000000A720: BF8CC97F
	v_mfma_f32_16x16x32_fp8_fp8 v[100:103], a[128:129], v[12:13], v[100:103]// 00000000A724: D3F30064 0D921980
	v_mfma_f32_16x16x32_fp8_fp8 v[104:107], a[144:145], v[12:13], v[104:107]// 00000000A72C: D3F30068 0DA21990
	v_mfma_f32_16x16x32_fp8_fp8 v[100:103], a[130:131], v[14:15], v[100:103]// 00000000A734: D3F30064 0D921D82
	buffer_load_dwordx4 a[96:99], v236, s[16:19], 0 offen      // 00000000A73C: E05C1000 808460EC
	v_mfma_f32_16x16x32_fp8_fp8 v[104:107], a[146:147], v[14:15], v[104:107]// 00000000A744: D3F30068 0DA21D92
	s_waitcnt lgkmcnt(8)                                       // 00000000A74C: BF8CC87F
	v_mfma_f32_16x16x32_fp8_fp8 v[100:103], a[132:133], v[16:17], v[100:103]// 00000000A750: D3F30064 0D922184
	v_mfma_f32_16x16x32_fp8_fp8 v[104:107], a[148:149], v[16:17], v[104:107]// 00000000A758: D3F30068 0DA22194
	v_mfma_f32_16x16x32_fp8_fp8 v[100:103], a[134:135], v[18:19], v[100:103]// 00000000A760: D3F30064 0D922586
	buffer_load_dwordx4 a[100:103], v237, s[16:19], 0 offen    // 00000000A768: E05C1000 808464ED
	v_mfma_f32_16x16x32_fp8_fp8 v[104:107], a[150:151], v[18:19], v[104:107]// 00000000A770: D3F30068 0DA22596
	s_waitcnt lgkmcnt(7)                                       // 00000000A778: BF8CC77F
	v_mfma_f32_16x16x32_fp8_fp8 v[108:111], a[120:121], v[20:21], 0// 00000000A77C: D3F3006C 0A022978
	v_mfma_f32_16x16x32_fp8_fp8 v[112:115], a[136:137], v[20:21], 0// 00000000A784: D3F30070 0A022988
	v_mfma_f32_16x16x32_fp8_fp8 v[108:111], a[122:123], v[22:23], v[108:111]// 00000000A78C: D3F3006C 0DB22D7A
	buffer_load_dwordx4 a[104:107], v234, s[16:19], 0 offen offset:1024// 00000000A794: E05C1400 808468EA
	v_mfma_f32_16x16x32_fp8_fp8 v[112:115], a[138:139], v[22:23], v[112:115]// 00000000A79C: D3F30070 0DC22D8A
	s_waitcnt lgkmcnt(6)                                       // 00000000A7A4: BF8CC67F
	v_mfma_f32_16x16x32_fp8_fp8 v[108:111], a[124:125], v[24:25], v[108:111]// 00000000A7A8: D3F3006C 0DB2317C
	v_mfma_f32_16x16x32_fp8_fp8 v[112:115], a[140:141], v[24:25], v[112:115]// 00000000A7B0: D3F30070 0DC2318C
	v_mfma_f32_16x16x32_fp8_fp8 v[108:111], a[126:127], v[26:27], v[108:111]// 00000000A7B8: D3F3006C 0DB2357E
	buffer_load_dwordx4 a[108:111], v235, s[16:19], 0 offen offset:1024// 00000000A7C0: E05C1400 80846CEB
	v_mfma_f32_16x16x32_fp8_fp8 v[112:115], a[142:143], v[26:27], v[112:115]// 00000000A7C8: D3F30070 0DC2358E
	s_waitcnt lgkmcnt(5)                                       // 00000000A7D0: BF8CC57F
	v_mfma_f32_16x16x32_fp8_fp8 v[108:111], a[128:129], v[28:29], v[108:111]// 00000000A7D4: D3F3006C 0DB23980
	v_mfma_f32_16x16x32_fp8_fp8 v[112:115], a[144:145], v[28:29], v[112:115]// 00000000A7DC: D3F30070 0DC23990
	v_mfma_f32_16x16x32_fp8_fp8 v[108:111], a[130:131], v[30:31], v[108:111]// 00000000A7E4: D3F3006C 0DB23D82
	buffer_load_dwordx4 a[112:115], v236, s[16:19], 0 offen offset:1024// 00000000A7EC: E05C1400 808470EC
	v_mfma_f32_16x16x32_fp8_fp8 v[112:115], a[146:147], v[30:31], v[112:115]// 00000000A7F4: D3F30070 0DC23D92
	s_waitcnt lgkmcnt(4)                                       // 00000000A7FC: BF8CC47F
	v_mfma_f32_16x16x32_fp8_fp8 v[108:111], a[132:133], v[32:33], v[108:111]// 00000000A800: D3F3006C 0DB24184
	v_mfma_f32_16x16x32_fp8_fp8 v[112:115], a[148:149], v[32:33], v[112:115]// 00000000A808: D3F30070 0DC24194
	v_mfma_f32_16x16x32_fp8_fp8 v[108:111], a[134:135], v[34:35], v[108:111]// 00000000A810: D3F3006C 0DB24586
	buffer_load_dwordx4 a[116:119], v237, s[16:19], 0 offen offset:1024// 00000000A818: E05C1400 808474ED
	v_mfma_f32_16x16x32_fp8_fp8 v[112:115], a[150:151], v[34:35], v[112:115]// 00000000A820: D3F30070 0DC24596
	s_waitcnt lgkmcnt(3)                                       // 00000000A828: BF8CC37F
	v_mfma_f32_16x16x32_fp8_fp8 v[116:119], a[120:121], v[36:37], 0// 00000000A82C: D3F30074 0A024978
	v_mfma_f32_16x16x32_fp8_fp8 v[120:123], a[136:137], v[36:37], 0// 00000000A834: D3F30078 0A024988
	v_mfma_f32_16x16x32_fp8_fp8 v[116:119], a[122:123], v[38:39], v[116:119]// 00000000A83C: D3F30074 0DD24D7A
	v_mfma_f32_16x16x32_fp8_fp8 v[120:123], a[138:139], v[38:39], v[120:123]// 00000000A844: D3F30078 0DE24D8A
	s_waitcnt lgkmcnt(2)                                       // 00000000A84C: BF8CC27F
	v_mfma_f32_16x16x32_fp8_fp8 v[116:119], a[124:125], v[40:41], v[116:119]// 00000000A850: D3F30074 0DD2517C
	v_mfma_f32_16x16x32_fp8_fp8 v[120:123], a[140:141], v[40:41], v[120:123]// 00000000A858: D3F30078 0DE2518C
	v_mfma_f32_16x16x32_fp8_fp8 v[116:119], a[126:127], v[42:43], v[116:119]// 00000000A860: D3F30074 0DD2557E
	v_mfma_f32_16x16x32_fp8_fp8 v[120:123], a[142:143], v[42:43], v[120:123]// 00000000A868: D3F30078 0DE2558E
	s_waitcnt lgkmcnt(1)                                       // 00000000A870: BF8CC17F
	v_mfma_f32_16x16x32_fp8_fp8 v[116:119], a[128:129], v[44:45], v[116:119]// 00000000A874: D3F30074 0DD25980
	v_mfma_f32_16x16x32_fp8_fp8 v[120:123], a[144:145], v[44:45], v[120:123]// 00000000A87C: D3F30078 0DE25990
	v_mfma_f32_16x16x32_fp8_fp8 v[116:119], a[130:131], v[46:47], v[116:119]// 00000000A884: D3F30074 0DD25D82
	v_mfma_f32_16x16x32_fp8_fp8 v[120:123], a[146:147], v[46:47], v[120:123]// 00000000A88C: D3F30078 0DE25D92
	s_waitcnt lgkmcnt(0)                                       // 00000000A894: BF8CC07F
	v_mfma_f32_16x16x32_fp8_fp8 v[116:119], a[132:133], v[48:49], v[116:119]// 00000000A898: D3F30074 0DD26184
	v_mfma_f32_16x16x32_fp8_fp8 v[120:123], a[148:149], v[48:49], v[120:123]// 00000000A8A0: D3F30078 0DE26194
	v_mfma_f32_16x16x32_fp8_fp8 v[116:119], a[134:135], v[50:51], v[116:119]// 00000000A8A8: D3F30074 0DD26586
	v_mfma_f32_16x16x32_fp8_fp8 v[120:123], a[150:151], v[50:51], v[120:123]// 00000000A8B0: D3F30078 0DE26596
	s_addk_i32 s64, 0x100                                      // 00000000A8B8: B7400100
	s_branch label_126A                                        // 00000000A8BC: BF82F1BA

000000000000a8c0 <label_20B0>:
	s_cmp_lt_i32 s64, s62                                      // 00000000A8C0: BF043E40
	s_cbranch_scc0 label_3B92                                  // 00000000A8C4: BF841AE0
	s_waitcnt vmcnt(10)                                        // 00000000A8C8: BF8C0F7A
	v_mfma_f32_16x16x32_fp8_fp8 v[4:7], a[24:25], a[0:1], 0    // 00000000A8CC: D3F30004 1A020118
	s_add_u32 s12, s86, s69                                    // 00000000A8D4: 800C4556
	s_addc_u32 s13, s87, 0                                     // 00000000A8D8: 820D8057
	v_mfma_f32_16x16x32_fp8_fp8 v[4:7], a[26:27], a[2:3], v[4:7]// 00000000A8DC: D3F30004 1C12051A
	s_add_u32 s16, s88, s70                                    // 00000000A8E4: 80104658
	s_addc_u32 s17, s89, 0                                     // 00000000A8E8: 82118059
	v_mfma_f32_16x16x32_fp8_fp8 v[4:7], a[28:29], a[4:5], v[4:7]// 00000000A8EC: D3F30004 1C12091C
	buffer_load_dwordx4 a[56:59], v232, s[12:15], 0 offen      // 00000000A8F4: E05C1000 808338E8
	v_mfma_f32_16x16x32_fp8_fp8 v[4:7], a[30:31], a[6:7], v[4:7]// 00000000A8FC: D3F30004 1C120D1E
	s_add_u32 s20, s90, s71                                    // 00000000A904: 8014475A
	s_addc_u32 s21, s91, 0                                     // 00000000A908: 8215805B
	v_mfma_f32_16x16x32_fp8_fp8 v[8:11], a[32:33], a[0:1], 0   // 00000000A90C: D3F30008 1A020120
	s_add_u32 s24, s92, s71                                    // 00000000A914: 8018475C
	s_addc_u32 s25, s93, 0                                     // 00000000A918: 8219805D
	v_mfma_f32_16x16x32_fp8_fp8 v[8:11], a[34:35], a[2:3], v[8:11]// 00000000A91C: D3F30008 1C220522
	s_add_u32 s69, s69, 0x1000                                 // 00000000A924: 8045FF45 00001000
	s_add_u32 s70, s70, 0x8000                                 // 00000000A92C: 8046FF46 00008000
	v_mfma_f32_16x16x32_fp8_fp8 v[8:11], a[36:37], a[4:5], v[8:11]// 00000000A934: D3F30008 1C220924
	buffer_load_dwordx4 a[60:63], v233, s[12:15], 0 offen      // 00000000A93C: E05C1000 80833CE9
	v_mfma_f32_16x16x32_fp8_fp8 v[8:11], a[38:39], a[6:7], v[8:11]// 00000000A944: D3F30008 1C220D26
	v_mfma_f32_16x16x32_fp8_fp8 v[12:15], a[40:41], a[0:1], 0  // 00000000A94C: D3F3000C 1A020128
	v_mfma_f32_16x16x32_fp8_fp8 v[12:15], a[42:43], a[2:3], v[12:15]// 00000000A954: D3F3000C 1C32052A
	v_mfma_f32_16x16x32_fp8_fp8 v[12:15], a[44:45], a[4:5], v[12:15]// 00000000A95C: D3F3000C 1C32092C
	buffer_load_dwordx4 a[64:67], v232, s[12:15], 0 offen offset:1024// 00000000A964: E05C1400 808340E8
	v_mfma_f32_16x16x32_fp8_fp8 v[12:15], a[46:47], a[6:7], v[12:15]// 00000000A96C: D3F3000C 1C320D2E
	v_mfma_f32_16x16x32_fp8_fp8 v[16:19], a[48:49], a[0:1], 0  // 00000000A974: D3F30010 1A020130
	v_mfma_f32_16x16x32_fp8_fp8 v[16:19], a[50:51], a[2:3], v[16:19]// 00000000A97C: D3F30010 1C420532
	v_mfma_f32_16x16x32_fp8_fp8 v[16:19], a[52:53], a[4:5], v[16:19]// 00000000A984: D3F30010 1C420934
	buffer_load_dwordx4 a[68:71], v233, s[12:15], 0 offen offset:1024// 00000000A98C: E05C1400 808344E9
	v_mfma_f32_16x16x32_fp8_fp8 v[16:19], a[54:55], a[6:7], v[16:19]// 00000000A994: D3F30010 1C420D36
	v_mfma_f32_16x16x32_fp8_fp8 v[20:23], a[24:25], a[8:9], 0  // 00000000A99C: D3F30014 1A021118
	v_mfma_f32_16x16x32_fp8_fp8 v[20:23], a[26:27], a[10:11], v[20:23]// 00000000A9A4: D3F30014 1C52151A
	v_mfma_f32_16x16x32_fp8_fp8 v[20:23], a[28:29], a[12:13], v[20:23]// 00000000A9AC: D3F30014 1C52191C
	buffer_load_dwordx4 a[72:75], v232, s[12:15], 0 offen offset:2048// 00000000A9B4: E05C1800 808348E8
	v_mfma_f32_16x16x32_fp8_fp8 v[20:23], a[30:31], a[14:15], v[20:23]// 00000000A9BC: D3F30014 1C521D1E
	v_mfma_f32_16x16x32_fp8_fp8 v[24:27], a[32:33], a[8:9], 0  // 00000000A9C4: D3F30018 1A021120
	v_mfma_f32_16x16x32_fp8_fp8 v[24:27], a[34:35], a[10:11], v[24:27]// 00000000A9CC: D3F30018 1C621522
	v_mfma_f32_16x16x32_fp8_fp8 v[24:27], a[36:37], a[12:13], v[24:27]// 00000000A9D4: D3F30018 1C621924
	buffer_load_dwordx4 a[76:79], v233, s[12:15], 0 offen offset:2048// 00000000A9DC: E05C1800 80834CE9
	v_mfma_f32_16x16x32_fp8_fp8 v[24:27], a[38:39], a[14:15], v[24:27]// 00000000A9E4: D3F30018 1C621D26
	v_mfma_f32_16x16x32_fp8_fp8 v[28:31], a[40:41], a[8:9], 0  // 00000000A9EC: D3F3001C 1A021128
	v_mfma_f32_16x16x32_fp8_fp8 v[28:31], a[42:43], a[10:11], v[28:31]// 00000000A9F4: D3F3001C 1C72152A
	v_mfma_f32_16x16x32_fp8_fp8 v[28:31], a[44:45], a[12:13], v[28:31]// 00000000A9FC: D3F3001C 1C72192C
	buffer_load_dwordx4 a[80:83], v232, s[12:15], 0 offen offset:3072// 00000000AA04: E05C1C00 808350E8
	v_mfma_f32_16x16x32_fp8_fp8 v[28:31], a[46:47], a[14:15], v[28:31]// 00000000AA0C: D3F3001C 1C721D2E
	v_mfma_f32_16x16x32_fp8_fp8 v[32:35], a[48:49], a[8:9], 0  // 00000000AA14: D3F30020 1A021130
	v_mfma_f32_16x16x32_fp8_fp8 v[32:35], a[50:51], a[10:11], v[32:35]// 00000000AA1C: D3F30020 1C821532
	v_mfma_f32_16x16x32_fp8_fp8 v[32:35], a[52:53], a[12:13], v[32:35]// 00000000AA24: D3F30020 1C821934
	buffer_load_dwordx4 a[84:87], v233, s[12:15], 0 offen offset:3072// 00000000AA2C: E05C1C00 808354E9
	v_mfma_f32_16x16x32_fp8_fp8 v[32:35], a[54:55], a[14:15], v[32:35]// 00000000AA34: D3F30020 1C821D36
	v_mfma_f32_16x16x32_fp8_fp8 v[36:39], a[24:25], a[16:17], 0// 00000000AA3C: D3F30024 1A022118
	v_mfma_f32_16x16x32_fp8_fp8 v[36:39], a[26:27], a[18:19], v[36:39]// 00000000AA44: D3F30024 1C92251A
	v_mfma_f32_16x16x32_fp8_fp8 v[36:39], a[28:29], a[20:21], v[36:39]// 00000000AA4C: D3F30024 1C92291C
	v_mfma_f32_16x16x32_fp8_fp8 v[36:39], a[30:31], a[22:23], v[36:39]// 00000000AA54: D3F30024 1C922D1E
	v_mfma_f32_16x16x32_fp8_fp8 v[40:43], a[32:33], a[16:17], 0// 00000000AA5C: D3F30028 1A022120
	v_mfma_f32_16x16x32_fp8_fp8 v[40:43], a[34:35], a[18:19], v[40:43]// 00000000AA64: D3F30028 1CA22522
	v_mfma_f32_16x16x32_fp8_fp8 v[40:43], a[36:37], a[20:21], v[40:43]// 00000000AA6C: D3F30028 1CA22924
	v_mfma_f32_16x16x32_fp8_fp8 v[40:43], a[38:39], a[22:23], v[40:43]// 00000000AA74: D3F30028 1CA22D26
	v_mfma_f32_16x16x32_fp8_fp8 v[44:47], a[40:41], a[16:17], 0// 00000000AA7C: D3F3002C 1A022128
	v_mfma_f32_16x16x32_fp8_fp8 v[44:47], a[42:43], a[18:19], v[44:47]// 00000000AA84: D3F3002C 1CB2252A
	v_mfma_f32_16x16x32_fp8_fp8 v[44:47], a[44:45], a[20:21], v[44:47]// 00000000AA8C: D3F3002C 1CB2292C
	v_mfma_f32_16x16x32_fp8_fp8 v[44:47], a[46:47], a[22:23], v[44:47]// 00000000AA94: D3F3002C 1CB22D2E
	v_mfma_f32_16x16x32_fp8_fp8 v[48:51], a[48:49], a[16:17], 0// 00000000AA9C: D3F30030 1A022130
	v_mfma_f32_16x16x32_fp8_fp8 v[48:51], a[50:51], a[18:19], v[48:51]// 00000000AAA4: D3F30030 1CC22532
	v_mfma_f32_16x16x32_fp8_fp8 v[48:51], a[52:53], a[20:21], v[48:51]// 00000000AAAC: D3F30030 1CC22934
	v_mfma_f32_16x16x32_fp8_fp8 v[48:51], a[54:55], a[22:23], v[48:51]// 00000000AAB4: D3F30030 1CC22D36
	s_waitcnt vmcnt(16)                                        // 00000000AABC: BF8C4F70
	v_or_b32_dpp v36, v44, v36 row_shr:8 row_mask:0xf bank_mask:0xf bound_ctrl:1// 00000000AAC0: 284848FA FF09182C
	v_or_b32_dpp v37, v45, v37 row_shr:8 row_mask:0xf bank_mask:0xf bound_ctrl:1// 00000000AAC8: 284A4AFA FF09182D
	v_or_b32_dpp v38, v46, v38 row_shr:8 row_mask:0xf bank_mask:0xf bound_ctrl:1// 00000000AAD0: 284C4CFA FF09182E
	v_or_b32_dpp v39, v47, v39 row_shr:8 row_mask:0xf bank_mask:0xf bound_ctrl:1// 00000000AAD8: 284E4EFA FF09182F
	v_or_b32_dpp v40, v48, v40 row_shr:8 row_mask:0xf bank_mask:0xf bound_ctrl:1// 00000000AAE0: 285050FA FF091830
	v_or_b32_dpp v41, v49, v41 row_shr:8 row_mask:0xf bank_mask:0xf bound_ctrl:1// 00000000AAE8: 285252FA FF091831
	v_or_b32_dpp v42, v50, v42 row_shr:8 row_mask:0xf bank_mask:0xf bound_ctrl:1// 00000000AAF0: 285454FA FF091832
	v_or_b32_dpp v43, v51, v43 row_shr:8 row_mask:0xf bank_mask:0xf bound_ctrl:1// 00000000AAF8: 285656FA FF091833
	v_pk_mul_f32 v[4:5], v[148:149], v[4:5]                    // 00000000AB00: D3B14004 18020994
	v_pk_mul_f32 v[6:7], v[148:149], v[6:7]                    // 00000000AB08: D3B14006 18020D94
	v_pk_mul_f32 v[8:9], v[148:149], v[8:9]                    // 00000000AB10: D3B14008 18021194
	v_pk_mul_f32 v[10:11], v[148:149], v[10:11]                // 00000000AB18: D3B1400A 18021594
	v_pk_mul_f32 v[12:13], v[148:149], v[12:13]                // 00000000AB20: D3B1400C 18021994
	v_pk_mul_f32 v[14:15], v[148:149], v[14:15]                // 00000000AB28: D3B1400E 18021D94
	v_pk_mul_f32 v[16:17], v[148:149], v[16:17]                // 00000000AB30: D3B14010 18022194
	v_pk_mul_f32 v[18:19], v[148:149], v[18:19]                // 00000000AB38: D3B14012 18022594
	v_mul_f32_e32 v4, v154, v4                                 // 00000000AB40: 0A08099A
	v_mul_f32_e32 v5, v154, v5                                 // 00000000AB44: 0A0A0B9A
	v_mul_f32_e32 v6, v154, v6                                 // 00000000AB48: 0A0C0D9A
	v_mul_f32_e32 v7, v154, v7                                 // 00000000AB4C: 0A0E0F9A
	v_mul_f32_e32 v8, v154, v8                                 // 00000000AB50: 0A10119A
	v_mul_f32_e32 v9, v154, v9                                 // 00000000AB54: 0A12139A
	v_mul_f32_e32 v10, v154, v10                               // 00000000AB58: 0A14159A
	v_mul_f32_e32 v11, v154, v11                               // 00000000AB5C: 0A16179A
	v_mul_f32_e32 v12, v154, v12                               // 00000000AB60: 0A18199A
	v_mul_f32_e32 v13, v154, v13                               // 00000000AB64: 0A1A1B9A
	v_mul_f32_e32 v14, v154, v14                               // 00000000AB68: 0A1C1D9A
	v_mul_f32_e32 v15, v154, v15                               // 00000000AB6C: 0A1E1F9A
	v_mul_f32_e32 v16, v154, v16                               // 00000000AB70: 0A20219A
	v_mul_f32_e32 v17, v154, v17                               // 00000000AB74: 0A22239A
	v_mul_f32_e32 v18, v154, v18                               // 00000000AB78: 0A24259A
	v_mul_f32_e32 v19, v154, v19                               // 00000000AB7C: 0A26279A
	v_pk_mul_f32 v[20:21], v[150:151], v[20:21]                // 00000000AB80: D3B14014 18022996
	v_pk_mul_f32 v[22:23], v[150:151], v[22:23]                // 00000000AB88: D3B14016 18022D96
	v_pk_mul_f32 v[24:25], v[150:151], v[24:25]                // 00000000AB90: D3B14018 18023196
	v_pk_mul_f32 v[26:27], v[150:151], v[26:27]                // 00000000AB98: D3B1401A 18023596
	v_pk_mul_f32 v[28:29], v[150:151], v[28:29]                // 00000000ABA0: D3B1401C 18023996
	v_pk_mul_f32 v[30:31], v[150:151], v[30:31]                // 00000000ABA8: D3B1401E 18023D96
	v_pk_mul_f32 v[32:33], v[150:151], v[32:33]                // 00000000ABB0: D3B14020 18024196
	v_pk_mul_f32 v[34:35], v[150:151], v[34:35]                // 00000000ABB8: D3B14022 18024596
	v_mul_f32_e32 v20, v154, v20                               // 00000000ABC0: 0A28299A
	v_mul_f32_e32 v21, v154, v21                               // 00000000ABC4: 0A2A2B9A
	v_mul_f32_e32 v22, v154, v22                               // 00000000ABC8: 0A2C2D9A
	v_mul_f32_e32 v23, v154, v23                               // 00000000ABCC: 0A2E2F9A
	v_mul_f32_e32 v24, v154, v24                               // 00000000ABD0: 0A30319A
	v_mul_f32_e32 v25, v154, v25                               // 00000000ABD4: 0A32339A
	v_mul_f32_e32 v26, v154, v26                               // 00000000ABD8: 0A34359A
	v_mul_f32_e32 v27, v154, v27                               // 00000000ABDC: 0A36379A
	v_mul_f32_e32 v28, v154, v28                               // 00000000ABE0: 0A38399A
	v_mul_f32_e32 v29, v154, v29                               // 00000000ABE4: 0A3A3B9A
	v_mul_f32_e32 v30, v154, v30                               // 00000000ABE8: 0A3C3D9A
	v_mul_f32_e32 v31, v154, v31                               // 00000000ABEC: 0A3E3F9A
	v_mul_f32_e32 v32, v154, v32                               // 00000000ABF0: 0A40419A
	v_mul_f32_e32 v33, v154, v33                               // 00000000ABF4: 0A42439A
	v_mul_f32_e32 v34, v154, v34                               // 00000000ABF8: 0A44459A
	v_mul_f32_e32 v35, v154, v35                               // 00000000ABFC: 0A46479A
	v_pk_mul_f32 v[36:37], v[152:153], v[36:37]                // 00000000AC00: D3B14024 18024998
	v_pk_mul_f32 v[38:39], v[152:153], v[38:39]                // 00000000AC08: D3B14026 18024D98
	v_pk_mul_f32 v[40:41], v[152:153], v[40:41]                // 00000000AC10: D3B14028 18025198
	v_pk_mul_f32 v[42:43], v[152:153], v[42:43]                // 00000000AC18: D3B1402A 18025598
	v_mul_f32_e32 v36, v154, v36                               // 00000000AC20: 0A48499A
	v_mul_f32_e32 v37, v154, v37                               // 00000000AC24: 0A4A4B9A
	v_mul_f32_e32 v38, v154, v38                               // 00000000AC28: 0A4C4D9A
	v_mul_f32_e32 v39, v154, v39                               // 00000000AC2C: 0A4E4F9A
	v_mul_f32_e32 v40, v154, v40                               // 00000000AC30: 0A50519A
	v_mul_f32_e32 v41, v154, v41                               // 00000000AC34: 0A52539A
	v_mul_f32_e32 v42, v154, v42                               // 00000000AC38: 0A54559A
	v_mul_f32_e32 v43, v154, v43                               // 00000000AC3C: 0A56579A
	v_add_u32_e32 v168, s64, v222                              // 00000000AC40: 6951BC40
	v_add_u32_e32 v169, 0, v168                                // 00000000AC44: 69535080
	v_cmp_lt_u32_e64 s[98:99], v169, v219                      // 00000000AC48: D0C90062 0003B7A9
	s_nop 0                                                    // 00000000AC50: BF800000
	v_cndmask_b32_e64 v4, v225, v4, s[98:99]                   // 00000000AC54: D1000004 018A09E1
	v_add_u32_e32 v169, 1, v168                                // 00000000AC5C: 69535081
	v_cmp_lt_u32_e64 s[98:99], v169, v219                      // 00000000AC60: D0C90062 0003B7A9
	s_nop 0                                                    // 00000000AC68: BF800000
	v_cndmask_b32_e64 v5, v225, v5, s[98:99]                   // 00000000AC6C: D1000005 018A0BE1
	v_add_u32_e32 v169, 2, v168                                // 00000000AC74: 69535082
	v_cmp_lt_u32_e64 s[98:99], v169, v219                      // 00000000AC78: D0C90062 0003B7A9
	s_nop 0                                                    // 00000000AC80: BF800000
	v_cndmask_b32_e64 v6, v225, v6, s[98:99]                   // 00000000AC84: D1000006 018A0DE1
	v_add_u32_e32 v169, 3, v168                                // 00000000AC8C: 69535083
	v_cmp_lt_u32_e64 s[98:99], v169, v219                      // 00000000AC90: D0C90062 0003B7A9
	s_nop 0                                                    // 00000000AC98: BF800000
	v_cndmask_b32_e64 v7, v225, v7, s[98:99]                   // 00000000AC9C: D1000007 018A0FE1
	v_add_u32_e32 v169, 64, v168                               // 00000000ACA4: 695350C0
	v_cmp_lt_u32_e64 s[98:99], v169, v219                      // 00000000ACA8: D0C90062 0003B7A9
	s_nop 0                                                    // 00000000ACB0: BF800000
	v_cndmask_b32_e64 v8, v225, v8, s[98:99]                   // 00000000ACB4: D1000008 018A11E1
	v_add_u32_e32 v169, 0x41, v168                             // 00000000ACBC: 695350FF 00000041
	v_cmp_lt_u32_e64 s[98:99], v169, v219                      // 00000000ACC4: D0C90062 0003B7A9
	s_nop 0                                                    // 00000000ACCC: BF800000
	v_cndmask_b32_e64 v9, v225, v9, s[98:99]                   // 00000000ACD0: D1000009 018A13E1
	v_add_u32_e32 v169, 0x42, v168                             // 00000000ACD8: 695350FF 00000042
	v_cmp_lt_u32_e64 s[98:99], v169, v219                      // 00000000ACE0: D0C90062 0003B7A9
	s_nop 0                                                    // 00000000ACE8: BF800000
	v_cndmask_b32_e64 v10, v225, v10, s[98:99]                 // 00000000ACEC: D100000A 018A15E1
	v_add_u32_e32 v169, 0x43, v168                             // 00000000ACF4: 695350FF 00000043
	v_cmp_lt_u32_e64 s[98:99], v169, v219                      // 00000000ACFC: D0C90062 0003B7A9
	s_nop 0                                                    // 00000000AD04: BF800000
	v_cndmask_b32_e64 v11, v225, v11, s[98:99]                 // 00000000AD08: D100000B 018A17E1
	v_add_u32_e32 v169, 0x80, v168                             // 00000000AD10: 695350FF 00000080
	v_cmp_lt_u32_e64 s[98:99], v169, v219                      // 00000000AD18: D0C90062 0003B7A9
	s_nop 0                                                    // 00000000AD20: BF800000
	v_cndmask_b32_e64 v12, v225, v12, s[98:99]                 // 00000000AD24: D100000C 018A19E1
	v_add_u32_e32 v169, 0x81, v168                             // 00000000AD2C: 695350FF 00000081
	v_cmp_lt_u32_e64 s[98:99], v169, v219                      // 00000000AD34: D0C90062 0003B7A9
	s_nop 0                                                    // 00000000AD3C: BF800000
	v_cndmask_b32_e64 v13, v225, v13, s[98:99]                 // 00000000AD40: D100000D 018A1BE1
	v_add_u32_e32 v169, 0x82, v168                             // 00000000AD48: 695350FF 00000082
	v_cmp_lt_u32_e64 s[98:99], v169, v219                      // 00000000AD50: D0C90062 0003B7A9
	s_nop 0                                                    // 00000000AD58: BF800000
	v_cndmask_b32_e64 v14, v225, v14, s[98:99]                 // 00000000AD5C: D100000E 018A1DE1
	v_add_u32_e32 v169, 0x83, v168                             // 00000000AD64: 695350FF 00000083
	v_cmp_lt_u32_e64 s[98:99], v169, v219                      // 00000000AD6C: D0C90062 0003B7A9
	s_nop 0                                                    // 00000000AD74: BF800000
	v_cndmask_b32_e64 v15, v225, v15, s[98:99]                 // 00000000AD78: D100000F 018A1FE1
	v_add_u32_e32 v169, 0xc0, v168                             // 00000000AD80: 695350FF 000000C0
	v_cmp_lt_u32_e64 s[98:99], v169, v219                      // 00000000AD88: D0C90062 0003B7A9
	s_nop 0                                                    // 00000000AD90: BF800000
	v_cndmask_b32_e64 v16, v225, v16, s[98:99]                 // 00000000AD94: D1000010 018A21E1
	v_add_u32_e32 v169, 0xc1, v168                             // 00000000AD9C: 695350FF 000000C1
	v_cmp_lt_u32_e64 s[98:99], v169, v219                      // 00000000ADA4: D0C90062 0003B7A9
	s_nop 0                                                    // 00000000ADAC: BF800000
	v_cndmask_b32_e64 v17, v225, v17, s[98:99]                 // 00000000ADB0: D1000011 018A23E1
	v_add_u32_e32 v169, 0xc2, v168                             // 00000000ADB8: 695350FF 000000C2
	v_cmp_lt_u32_e64 s[98:99], v169, v219                      // 00000000ADC0: D0C90062 0003B7A9
	s_nop 0                                                    // 00000000ADC8: BF800000
	v_cndmask_b32_e64 v18, v225, v18, s[98:99]                 // 00000000ADCC: D1000012 018A25E1
	v_add_u32_e32 v169, 0xc3, v168                             // 00000000ADD4: 695350FF 000000C3
	v_cmp_lt_u32_e64 s[98:99], v169, v219                      // 00000000ADDC: D0C90062 0003B7A9
	s_nop 0                                                    // 00000000ADE4: BF800000
	v_cndmask_b32_e64 v19, v225, v19, s[98:99]                 // 00000000ADE8: D1000013 018A27E1
	v_add_u32_e32 v169, 0, v168                                // 00000000ADF0: 69535080
	v_cmp_lt_u32_e64 s[98:99], v169, v220                      // 00000000ADF4: D0C90062 0003B9A9
	s_nop 0                                                    // 00000000ADFC: BF800000
	v_cndmask_b32_e64 v20, v225, v20, s[98:99]                 // 00000000AE00: D1000014 018A29E1
	v_add_u32_e32 v169, 1, v168                                // 00000000AE08: 69535081
	v_cmp_lt_u32_e64 s[98:99], v169, v220                      // 00000000AE0C: D0C90062 0003B9A9
	s_nop 0                                                    // 00000000AE14: BF800000
	v_cndmask_b32_e64 v21, v225, v21, s[98:99]                 // 00000000AE18: D1000015 018A2BE1
	v_add_u32_e32 v169, 2, v168                                // 00000000AE20: 69535082
	v_cmp_lt_u32_e64 s[98:99], v169, v220                      // 00000000AE24: D0C90062 0003B9A9
	s_nop 0                                                    // 00000000AE2C: BF800000
	v_cndmask_b32_e64 v22, v225, v22, s[98:99]                 // 00000000AE30: D1000016 018A2DE1
	v_add_u32_e32 v169, 3, v168                                // 00000000AE38: 69535083
	v_cmp_lt_u32_e64 s[98:99], v169, v220                      // 00000000AE3C: D0C90062 0003B9A9
	s_nop 0                                                    // 00000000AE44: BF800000
	v_cndmask_b32_e64 v23, v225, v23, s[98:99]                 // 00000000AE48: D1000017 018A2FE1
	v_add_u32_e32 v169, 64, v168                               // 00000000AE50: 695350C0
	v_cmp_lt_u32_e64 s[98:99], v169, v220                      // 00000000AE54: D0C90062 0003B9A9
	s_nop 0                                                    // 00000000AE5C: BF800000
	v_cndmask_b32_e64 v24, v225, v24, s[98:99]                 // 00000000AE60: D1000018 018A31E1
	v_add_u32_e32 v169, 0x41, v168                             // 00000000AE68: 695350FF 00000041
	v_cmp_lt_u32_e64 s[98:99], v169, v220                      // 00000000AE70: D0C90062 0003B9A9
	s_nop 0                                                    // 00000000AE78: BF800000
	v_cndmask_b32_e64 v25, v225, v25, s[98:99]                 // 00000000AE7C: D1000019 018A33E1
	v_add_u32_e32 v169, 0x42, v168                             // 00000000AE84: 695350FF 00000042
	v_cmp_lt_u32_e64 s[98:99], v169, v220                      // 00000000AE8C: D0C90062 0003B9A9
	s_nop 0                                                    // 00000000AE94: BF800000
	v_cndmask_b32_e64 v26, v225, v26, s[98:99]                 // 00000000AE98: D100001A 018A35E1
	v_add_u32_e32 v169, 0x43, v168                             // 00000000AEA0: 695350FF 00000043
	v_cmp_lt_u32_e64 s[98:99], v169, v220                      // 00000000AEA8: D0C90062 0003B9A9
	s_nop 0                                                    // 00000000AEB0: BF800000
	v_cndmask_b32_e64 v27, v225, v27, s[98:99]                 // 00000000AEB4: D100001B 018A37E1
	v_add_u32_e32 v169, 0x80, v168                             // 00000000AEBC: 695350FF 00000080
	v_cmp_lt_u32_e64 s[98:99], v169, v220                      // 00000000AEC4: D0C90062 0003B9A9
	s_nop 0                                                    // 00000000AECC: BF800000
	v_cndmask_b32_e64 v28, v225, v28, s[98:99]                 // 00000000AED0: D100001C 018A39E1
	v_add_u32_e32 v169, 0x81, v168                             // 00000000AED8: 695350FF 00000081
	v_cmp_lt_u32_e64 s[98:99], v169, v220                      // 00000000AEE0: D0C90062 0003B9A9
	s_nop 0                                                    // 00000000AEE8: BF800000
	v_cndmask_b32_e64 v29, v225, v29, s[98:99]                 // 00000000AEEC: D100001D 018A3BE1
	v_add_u32_e32 v169, 0x82, v168                             // 00000000AEF4: 695350FF 00000082
	v_cmp_lt_u32_e64 s[98:99], v169, v220                      // 00000000AEFC: D0C90062 0003B9A9
	s_nop 0                                                    // 00000000AF04: BF800000
	v_cndmask_b32_e64 v30, v225, v30, s[98:99]                 // 00000000AF08: D100001E 018A3DE1
	v_add_u32_e32 v169, 0x83, v168                             // 00000000AF10: 695350FF 00000083
	v_cmp_lt_u32_e64 s[98:99], v169, v220                      // 00000000AF18: D0C90062 0003B9A9
	s_nop 0                                                    // 00000000AF20: BF800000
	v_cndmask_b32_e64 v31, v225, v31, s[98:99]                 // 00000000AF24: D100001F 018A3FE1
	v_add_u32_e32 v169, 0xc0, v168                             // 00000000AF2C: 695350FF 000000C0
	v_cmp_lt_u32_e64 s[98:99], v169, v220                      // 00000000AF34: D0C90062 0003B9A9
	s_nop 0                                                    // 00000000AF3C: BF800000
	v_cndmask_b32_e64 v32, v225, v32, s[98:99]                 // 00000000AF40: D1000020 018A41E1
	v_add_u32_e32 v169, 0xc1, v168                             // 00000000AF48: 695350FF 000000C1
	v_cmp_lt_u32_e64 s[98:99], v169, v220                      // 00000000AF50: D0C90062 0003B9A9
	s_nop 0                                                    // 00000000AF58: BF800000
	v_cndmask_b32_e64 v33, v225, v33, s[98:99]                 // 00000000AF5C: D1000021 018A43E1
	v_add_u32_e32 v169, 0xc2, v168                             // 00000000AF64: 695350FF 000000C2
	v_cmp_lt_u32_e64 s[98:99], v169, v220                      // 00000000AF6C: D0C90062 0003B9A9
	s_nop 0                                                    // 00000000AF74: BF800000
	v_cndmask_b32_e64 v34, v225, v34, s[98:99]                 // 00000000AF78: D1000022 018A45E1
	v_add_u32_e32 v169, 0xc3, v168                             // 00000000AF80: 695350FF 000000C3
	v_cmp_lt_u32_e64 s[98:99], v169, v220                      // 00000000AF88: D0C90062 0003B9A9
	s_nop 0                                                    // 00000000AF90: BF800000
	v_cndmask_b32_e64 v35, v225, v35, s[98:99]                 // 00000000AF94: D1000023 018A47E1
	v_add_u32_e32 v168, s64, v223                              // 00000000AF9C: 6951BE40
	v_add_u32_e32 v169, 0, v168                                // 00000000AFA0: 69535080
	v_cmp_lt_u32_e64 s[98:99], v169, v221                      // 00000000AFA4: D0C90062 0003BBA9
	s_nop 0                                                    // 00000000AFAC: BF800000
	v_cndmask_b32_e64 v36, v225, v36, s[98:99]                 // 00000000AFB0: D1000024 018A49E1
	v_add_u32_e32 v169, 1, v168                                // 00000000AFB8: 69535081
	v_cmp_lt_u32_e64 s[98:99], v169, v221                      // 00000000AFBC: D0C90062 0003BBA9
	s_nop 0                                                    // 00000000AFC4: BF800000
	v_cndmask_b32_e64 v37, v225, v37, s[98:99]                 // 00000000AFC8: D1000025 018A4BE1
	v_add_u32_e32 v169, 2, v168                                // 00000000AFD0: 69535082
	v_cmp_lt_u32_e64 s[98:99], v169, v221                      // 00000000AFD4: D0C90062 0003BBA9
	s_nop 0                                                    // 00000000AFDC: BF800000
	v_cndmask_b32_e64 v38, v225, v38, s[98:99]                 // 00000000AFE0: D1000026 018A4DE1
	v_add_u32_e32 v169, 3, v168                                // 00000000AFE8: 69535083
	v_cmp_lt_u32_e64 s[98:99], v169, v221                      // 00000000AFEC: D0C90062 0003BBA9
	s_nop 0                                                    // 00000000AFF4: BF800000
	v_cndmask_b32_e64 v39, v225, v39, s[98:99]                 // 00000000AFF8: D1000027 018A4FE1
	v_add_u32_e32 v169, 64, v168                               // 00000000B000: 695350C0
	v_cmp_lt_u32_e64 s[98:99], v169, v221                      // 00000000B004: D0C90062 0003BBA9
	s_nop 0                                                    // 00000000B00C: BF800000
	v_cndmask_b32_e64 v40, v225, v40, s[98:99]                 // 00000000B010: D1000028 018A51E1
	v_add_u32_e32 v169, 0x41, v168                             // 00000000B018: 695350FF 00000041
	v_cmp_lt_u32_e64 s[98:99], v169, v221                      // 00000000B020: D0C90062 0003BBA9
	s_nop 0                                                    // 00000000B028: BF800000
	v_cndmask_b32_e64 v41, v225, v41, s[98:99]                 // 00000000B02C: D1000029 018A53E1
	v_add_u32_e32 v169, 0x42, v168                             // 00000000B034: 695350FF 00000042
	v_cmp_lt_u32_e64 s[98:99], v169, v221                      // 00000000B03C: D0C90062 0003BBA9
	s_nop 0                                                    // 00000000B044: BF800000
	v_cndmask_b32_e64 v42, v225, v42, s[98:99]                 // 00000000B048: D100002A 018A55E1
	v_add_u32_e32 v169, 0x43, v168                             // 00000000B050: 695350FF 00000043
	v_cmp_lt_u32_e64 s[98:99], v169, v221                      // 00000000B058: D0C90062 0003BBA9
	s_nop 0                                                    // 00000000B060: BF800000
	v_cndmask_b32_e64 v43, v225, v43, s[98:99]                 // 00000000B064: D100002B 018A57E1
	v_mov_b32_e32 v190, v36                                    // 00000000B06C: 7F7C0324
	v_max3_f32 v190, v36, v37, v190                            // 00000000B070: D1D300BE 06FA4B24
	v_max3_f32 v190, v38, v39, v190                            // 00000000B078: D1D300BE 06FA4F26
	v_max3_f32 v190, v40, v41, v190                            // 00000000B080: D1D300BE 06FA5328
	v_max3_f32 v190, v42, v43, v190                            // 00000000B088: D1D300BE 06FA572A
	v_mov_b32_e32 v189, v20                                    // 00000000B090: 7F7A0314
	v_max3_f32 v189, v20, v21, v189                            // 00000000B094: D1D300BD 06F62B14
	v_max3_f32 v189, v22, v23, v189                            // 00000000B09C: D1D300BD 06F62F16
	v_max3_f32 v189, v24, v25, v189                            // 00000000B0A4: D1D300BD 06F63318
	v_max3_f32 v189, v26, v27, v189                            // 00000000B0AC: D1D300BD 06F6371A
	v_max3_f32 v189, v28, v29, v189                            // 00000000B0B4: D1D300BD 06F63B1C
	v_max3_f32 v189, v30, v31, v189                            // 00000000B0BC: D1D300BD 06F63F1E
	v_max3_f32 v189, v32, v33, v189                            // 00000000B0C4: D1D300BD 06F64320
	v_max3_f32 v189, v34, v35, v189                            // 00000000B0CC: D1D300BD 06F64722
	v_mov_b32_e32 v188, v4                                     // 00000000B0D4: 7F780304
	v_max3_f32 v188, v4, v5, v188                              // 00000000B0D8: D1D300BC 06F20B04
	v_max3_f32 v188, v6, v7, v188                              // 00000000B0E0: D1D300BC 06F20F06
	v_max3_f32 v188, v8, v9, v188                              // 00000000B0E8: D1D300BC 06F21308
	v_max3_f32 v188, v10, v11, v188                            // 00000000B0F0: D1D300BC 06F2170A
	v_max3_f32 v188, v12, v13, v188                            // 00000000B0F8: D1D300BC 06F21B0C
	v_max3_f32 v188, v14, v15, v188                            // 00000000B100: D1D300BC 06F21F0E
	v_max3_f32 v188, v16, v17, v188                            // 00000000B108: D1D300BC 06F22310
	v_max3_f32 v188, v18, v19, v188                            // 00000000B110: D1D300BC 06F22712
	v_max_f32_dpp v190, v190, v190 row_ror:8 row_mask:0xf bank_mask:0xf// 00000000B118: 177D7CFA FF0128BE
	ds_bpermute_b32 v172, v212, v188                           // 00000000B120: D87E0000 AC00BCD4
	ds_bpermute_b32 v173, v213, v188                           // 00000000B128: D87E0000 AD00BCD5
	ds_bpermute_b32 v174, v214, v188                           // 00000000B130: D87E0000 AE00BCD6
	ds_bpermute_b32 v175, v212, v189                           // 00000000B138: D87E0000 AF00BDD4
	ds_bpermute_b32 v176, v213, v189                           // 00000000B140: D87E0000 B000BDD5
	ds_bpermute_b32 v177, v214, v189                           // 00000000B148: D87E0000 B100BDD6
	ds_bpermute_b32 v178, v212, v190                           // 00000000B150: D87E0000 B200BED4
	ds_bpermute_b32 v179, v213, v190                           // 00000000B158: D87E0000 B300BED5
	ds_bpermute_b32 v180, v214, v190                           // 00000000B160: D87E0000 B400BED6
	v_pk_mul_f32 v[124:125], v[200:201], v[124:125]            // 00000000B168: D3B1407C 1802F9C8
	v_pk_mul_f32 v[126:127], v[200:201], v[126:127]            // 00000000B170: D3B1407E 1802FDC8
	v_pk_mul_f32 v[128:129], v[200:201], v[128:129]            // 00000000B178: D3B14080 180301C8
	v_pk_mul_f32 v[130:131], v[200:201], v[130:131]            // 00000000B180: D3B14082 180305C8
	v_pk_mul_f32 v[132:133], v[202:203], v[132:133]            // 00000000B188: D3B14084 180309CA
	v_pk_mul_f32 v[134:135], v[202:203], v[134:135]            // 00000000B190: D3B14086 18030DCA
	v_pk_mul_f32 v[136:137], v[202:203], v[136:137]            // 00000000B198: D3B14088 180311CA
	v_pk_mul_f32 v[138:139], v[202:203], v[138:139]            // 00000000B1A0: D3B1408A 180315CA
	v_pk_mul_f32 v[140:141], v[204:205], v[140:141]            // 00000000B1A8: D3B1408C 180319CC
	v_pk_mul_f32 v[142:143], v[204:205], v[142:143]            // 00000000B1B0: D3B1408E 18031DCC
	v_pk_mul_f32 v[144:145], v[204:205], v[144:145]            // 00000000B1B8: D3B14090 180321CC
	v_pk_mul_f32 v[146:147], v[204:205], v[146:147]            // 00000000B1C0: D3B14092 180325CC
	s_waitcnt lgkmcnt(6)                                       // 00000000B1C8: BF8CC67F
	v_max3_f32 v188, v172, v173, v188                          // 00000000B1CC: D1D300BC 06F35BAC
	v_max_f32_e32 v188, v174, v188                             // 00000000B1D4: 177979AE
	s_waitcnt lgkmcnt(3)                                       // 00000000B1D8: BF8CC37F
	v_max3_f32 v189, v175, v176, v189                          // 00000000B1DC: D1D300BD 06F761AF
	v_max_f32_e32 v189, v177, v189                             // 00000000B1E4: 177B7BB1
	s_waitcnt lgkmcnt(0)                                       // 00000000B1E8: BF8CC07F
	v_max3_f32 v190, v178, v179, v190                          // 00000000B1EC: D1D300BE 06FB67B2
	v_max_f32_e32 v190, v180, v190                             // 00000000B1F4: 177D7DB4
	ds_write_b128 v252, v[188:191]                             // 00000000B1F8: D9BE0000 0000BCFC
	s_waitcnt lgkmcnt(0)                                       // 00000000B200: BF8CC07F
	s_barrier                                                  // 00000000B204: BF8A0000
	ds_read_b128 v[172:175], v253                              // 00000000B208: D9FE0000 AC0000FD
	ds_read_b128 v[176:179], v253 offset:256                   // 00000000B210: D9FE0100 B00000FD
	ds_read_b128 v[180:183], v253 offset:512                   // 00000000B218: D9FE0200 B40000FD
	ds_read_b128 v[184:187], v253 offset:768                   // 00000000B220: D9FE0300 B80000FD
	v_pk_mul_f32 v[100:101], v[158:159], v[100:101]            // 00000000B228: D3B14064 1802C99E
	v_pk_mul_f32 v[102:103], v[158:159], v[102:103]            // 00000000B230: D3B14066 1802CD9E
	v_pk_mul_f32 v[104:105], v[158:159], v[104:105]            // 00000000B238: D3B14068 1802D19E
	v_pk_mul_f32 v[106:107], v[158:159], v[106:107]            // 00000000B240: D3B1406A 1802D59E
	v_pk_mul_f32 v[108:109], v[160:161], v[108:109]            // 00000000B248: D3B1406C 1802D9A0
	v_pk_mul_f32 v[110:111], v[160:161], v[110:111]            // 00000000B250: D3B1406E 1802DDA0
	v_pk_mul_f32 v[112:113], v[160:161], v[112:113]            // 00000000B258: D3B14070 1802E1A0
	v_pk_mul_f32 v[114:115], v[160:161], v[114:115]            // 00000000B260: D3B14072 1802E5A0
	v_pk_mul_f32 v[116:117], v[162:163], v[116:117]            // 00000000B268: D3B14074 1802E9A2
	v_pk_mul_f32 v[118:119], v[162:163], v[118:119]            // 00000000B270: D3B14076 1802EDA2
	v_pk_mul_f32 v[120:121], v[162:163], v[120:121]            // 00000000B278: D3B14078 1802F1A2
	v_pk_mul_f32 v[122:123], v[162:163], v[122:123]            // 00000000B280: D3B1407A 1802F5A2
	s_waitcnt lgkmcnt(0)                                       // 00000000B288: BF8CC07F
	v_max3_f32 v188, v172, v176, v188                          // 00000000B28C: D1D300BC 06F361AC
	v_max3_f32 v189, v173, v177, v189                          // 00000000B294: D1D300BD 06F763AD
	v_max3_f32 v190, v174, v178, v190                          // 00000000B29C: D1D300BE 06FB65AE
	v_max3_f32 v188, v180, v184, v188                          // 00000000B2A4: D1D300BC 06F371B4
	v_max3_f32 v189, v181, v185, v189                          // 00000000B2AC: D1D300BD 06F773B5
	v_max3_f32 v190, v182, v186, v190                          // 00000000B2B4: D1D300BE 06FB75B6
	v_max_f32_e32 v197, v188, v194                             // 00000000B2BC: 178B85BC
	v_mul_f32_e64 v168, -s46, v197                             // 00000000B2C0: D10500A8 20038A2E
	v_mov_b32_e32 v169, v168                                   // 00000000B2C8: 7F5203A8
	v_pk_fma_f32 v[4:5], v[4:5], s[46:47], v[168:169]          // 00000000B2CC: D3B04004 1EA05D04
	v_pk_fma_f32 v[6:7], v[6:7], s[46:47], v[168:169]          // 00000000B2D4: D3B04006 1EA05D06
	v_exp_f32_e32 v4, v4                                       // 00000000B2DC: 7E084104
	v_exp_f32_e32 v5, v5                                       // 00000000B2E0: 7E0A4105
	v_exp_f32_e32 v6, v6                                       // 00000000B2E4: 7E0C4106
	v_exp_f32_e32 v7, v7                                       // 00000000B2E8: 7E0E4107
	v_pk_fma_f32 v[8:9], v[8:9], s[46:47], v[168:169]          // 00000000B2EC: D3B04008 1EA05D08
	v_pk_fma_f32 v[10:11], v[10:11], s[46:47], v[168:169]      // 00000000B2F4: D3B0400A 1EA05D0A
	v_exp_f32_e32 v8, v8                                       // 00000000B2FC: 7E104108
	v_exp_f32_e32 v9, v9                                       // 00000000B300: 7E124109
	v_exp_f32_e32 v10, v10                                     // 00000000B304: 7E14410A
	v_exp_f32_e32 v11, v11                                     // 00000000B308: 7E16410B
	v_pk_fma_f32 v[12:13], v[12:13], s[46:47], v[168:169]      // 00000000B30C: D3B0400C 1EA05D0C
	v_pk_fma_f32 v[14:15], v[14:15], s[46:47], v[168:169]      // 00000000B314: D3B0400E 1EA05D0E
	v_exp_f32_e32 v12, v12                                     // 00000000B31C: 7E18410C
	v_exp_f32_e32 v13, v13                                     // 00000000B320: 7E1A410D
	v_exp_f32_e32 v14, v14                                     // 00000000B324: 7E1C410E
	v_exp_f32_e32 v15, v15                                     // 00000000B328: 7E1E410F
	v_pk_fma_f32 v[16:17], v[16:17], s[46:47], v[168:169]      // 00000000B32C: D3B04010 1EA05D10
	v_pk_fma_f32 v[18:19], v[18:19], s[46:47], v[168:169]      // 00000000B334: D3B04012 1EA05D12
	v_exp_f32_e32 v16, v16                                     // 00000000B33C: 7E204110
	v_exp_f32_e32 v17, v17                                     // 00000000B340: 7E224111
	v_exp_f32_e32 v18, v18                                     // 00000000B344: 7E244112
	v_exp_f32_e32 v19, v19                                     // 00000000B348: 7E264113
	v_max_f32_e32 v198, v189, v195                             // 00000000B34C: 178D87BD
	v_mul_f32_e64 v168, -s46, v198                             // 00000000B350: D10500A8 20038C2E
	v_mov_b32_e32 v169, v168                                   // 00000000B358: 7F5203A8
	v_pk_fma_f32 v[20:21], v[20:21], s[46:47], v[168:169]      // 00000000B35C: D3B04014 1EA05D14
	v_pk_fma_f32 v[22:23], v[22:23], s[46:47], v[168:169]      // 00000000B364: D3B04016 1EA05D16
	v_exp_f32_e32 v20, v20                                     // 00000000B36C: 7E284114
	v_exp_f32_e32 v21, v21                                     // 00000000B370: 7E2A4115
	v_exp_f32_e32 v22, v22                                     // 00000000B374: 7E2C4116
	v_exp_f32_e32 v23, v23                                     // 00000000B378: 7E2E4117
	v_pk_fma_f32 v[24:25], v[24:25], s[46:47], v[168:169]      // 00000000B37C: D3B04018 1EA05D18
	v_pk_fma_f32 v[26:27], v[26:27], s[46:47], v[168:169]      // 00000000B384: D3B0401A 1EA05D1A
	v_exp_f32_e32 v24, v24                                     // 00000000B38C: 7E304118
	v_exp_f32_e32 v25, v25                                     // 00000000B390: 7E324119
	v_exp_f32_e32 v26, v26                                     // 00000000B394: 7E34411A
	v_exp_f32_e32 v27, v27                                     // 00000000B398: 7E36411B
	v_pk_fma_f32 v[28:29], v[28:29], s[46:47], v[168:169]      // 00000000B39C: D3B0401C 1EA05D1C
	v_pk_fma_f32 v[30:31], v[30:31], s[46:47], v[168:169]      // 00000000B3A4: D3B0401E 1EA05D1E
	v_exp_f32_e32 v28, v28                                     // 00000000B3AC: 7E38411C
	v_exp_f32_e32 v29, v29                                     // 00000000B3B0: 7E3A411D
	v_exp_f32_e32 v30, v30                                     // 00000000B3B4: 7E3C411E
	v_exp_f32_e32 v31, v31                                     // 00000000B3B8: 7E3E411F
	v_pk_fma_f32 v[32:33], v[32:33], s[46:47], v[168:169]      // 00000000B3BC: D3B04020 1EA05D20
	v_pk_fma_f32 v[34:35], v[34:35], s[46:47], v[168:169]      // 00000000B3C4: D3B04022 1EA05D22
	v_exp_f32_e32 v32, v32                                     // 00000000B3CC: 7E404120
	v_exp_f32_e32 v33, v33                                     // 00000000B3D0: 7E424121
	v_exp_f32_e32 v34, v34                                     // 00000000B3D4: 7E444122
	v_exp_f32_e32 v35, v35                                     // 00000000B3D8: 7E464123
	v_max_f32_e32 v199, v190, v196                             // 00000000B3DC: 178F89BE
	v_mul_f32_e64 v168, -s46, v199                             // 00000000B3E0: D10500A8 20038E2E
	v_mov_b32_e32 v169, v168                                   // 00000000B3E8: 7F5203A8
	v_pk_fma_f32 v[36:37], v[36:37], s[46:47], v[168:169]      // 00000000B3EC: D3B04024 1EA05D24
	v_pk_fma_f32 v[38:39], v[38:39], s[46:47], v[168:169]      // 00000000B3F4: D3B04026 1EA05D26
	v_exp_f32_e32 v36, v36                                     // 00000000B3FC: 7E484124
	v_exp_f32_e32 v37, v37                                     // 00000000B400: 7E4A4125
	v_exp_f32_e32 v38, v38                                     // 00000000B404: 7E4C4126
	v_exp_f32_e32 v39, v39                                     // 00000000B408: 7E4E4127
	v_pk_fma_f32 v[40:41], v[40:41], s[46:47], v[168:169]      // 00000000B40C: D3B04028 1EA05D28
	v_pk_fma_f32 v[42:43], v[42:43], s[46:47], v[168:169]      // 00000000B414: D3B0402A 1EA05D2A
	v_exp_f32_e32 v40, v40                                     // 00000000B41C: 7E504128
	v_exp_f32_e32 v41, v41                                     // 00000000B420: 7E524129
	v_exp_f32_e32 v42, v42                                     // 00000000B424: 7E54412A
	v_exp_f32_e32 v43, v43                                     // 00000000B428: 7E56412B
	v_mul_f32_e32 v52, v156, v4                                // 00000000B42C: 0A68099C
	v_mul_f32_e32 v53, v156, v5                                // 00000000B430: 0A6A0B9C
	v_mul_f32_e32 v54, v156, v6                                // 00000000B434: 0A6C0D9C
	v_mul_f32_e32 v55, v156, v7                                // 00000000B438: 0A6E0F9C
	v_mul_f32_e32 v56, v156, v8                                // 00000000B43C: 0A70119C
	v_mul_f32_e32 v57, v156, v9                                // 00000000B440: 0A72139C
	v_mul_f32_e32 v58, v156, v10                               // 00000000B444: 0A74159C
	v_mul_f32_e32 v59, v156, v11                               // 00000000B448: 0A76179C
	v_mul_f32_e32 v60, v156, v12                               // 00000000B44C: 0A78199C
	v_mul_f32_e32 v61, v156, v13                               // 00000000B450: 0A7A1B9C
	v_mul_f32_e32 v62, v156, v14                               // 00000000B454: 0A7C1D9C
	v_mul_f32_e32 v63, v156, v15                               // 00000000B458: 0A7E1F9C
	v_mul_f32_e32 v64, v156, v16                               // 00000000B45C: 0A80219C
	v_mul_f32_e32 v65, v156, v17                               // 00000000B460: 0A82239C
	v_mul_f32_e32 v66, v156, v18                               // 00000000B464: 0A84259C
	v_mul_f32_e32 v67, v156, v19                               // 00000000B468: 0A86279C
	v_mul_f32_e32 v68, v156, v20                               // 00000000B46C: 0A88299C
	v_mul_f32_e32 v69, v156, v21                               // 00000000B470: 0A8A2B9C
	v_mul_f32_e32 v70, v156, v22                               // 00000000B474: 0A8C2D9C
	v_mul_f32_e32 v71, v156, v23                               // 00000000B478: 0A8E2F9C
	v_mul_f32_e32 v72, v156, v24                               // 00000000B47C: 0A90319C
	v_mul_f32_e32 v73, v156, v25                               // 00000000B480: 0A92339C
	v_mul_f32_e32 v74, v156, v26                               // 00000000B484: 0A94359C
	v_mul_f32_e32 v75, v156, v27                               // 00000000B488: 0A96379C
	v_mul_f32_e32 v76, v156, v28                               // 00000000B48C: 0A98399C
	v_mul_f32_e32 v77, v156, v29                               // 00000000B490: 0A9A3B9C
	v_mul_f32_e32 v78, v156, v30                               // 00000000B494: 0A9C3D9C
	v_mul_f32_e32 v79, v156, v31                               // 00000000B498: 0A9E3F9C
	v_mul_f32_e32 v80, v156, v32                               // 00000000B49C: 0AA0419C
	v_mul_f32_e32 v81, v156, v33                               // 00000000B4A0: 0AA2439C
	v_mul_f32_e32 v82, v156, v34                               // 00000000B4A4: 0AA4459C
	v_mul_f32_e32 v83, v156, v35                               // 00000000B4A8: 0AA6479C
	v_mul_f32_e32 v84, v156, v36                               // 00000000B4AC: 0AA8499C
	v_mul_f32_e32 v85, v156, v37                               // 00000000B4B0: 0AAA4B9C
	v_mul_f32_e32 v86, v156, v38                               // 00000000B4B4: 0AAC4D9C
	v_mul_f32_e32 v87, v156, v39                               // 00000000B4B8: 0AAE4F9C
	v_mul_f32_e32 v88, v156, v40                               // 00000000B4BC: 0AB0519C
	v_mul_f32_e32 v89, v156, v41                               // 00000000B4C0: 0AB2539C
	v_mul_f32_e32 v90, v156, v42                               // 00000000B4C4: 0AB4559C
	v_mul_f32_e32 v91, v156, v43                               // 00000000B4C8: 0AB6579C
	v_add_u32_e32 v168, s64, v222                              // 00000000B4CC: 6951BC40
	v_add_u32_e32 v169, 0, v168                                // 00000000B4D0: 69535080
	v_cmp_lt_u32_e32 vcc, v169, v219                           // 00000000B4D4: 7D93B7A9
	s_nop 0                                                    // 00000000B4D8: BF800000
	v_cndmask_b32_e32 v52, 0, v52, vcc                         // 00000000B4DC: 00686880
	v_add_u32_e32 v169, 1, v168                                // 00000000B4E0: 69535081
	v_cmp_lt_u32_e32 vcc, v169, v219                           // 00000000B4E4: 7D93B7A9
	s_nop 0                                                    // 00000000B4E8: BF800000
	v_cndmask_b32_e32 v53, 0, v53, vcc                         // 00000000B4EC: 006A6A80
	v_add_u32_e32 v169, 2, v168                                // 00000000B4F0: 69535082
	v_cmp_lt_u32_e32 vcc, v169, v219                           // 00000000B4F4: 7D93B7A9
	s_nop 0                                                    // 00000000B4F8: BF800000
	v_cndmask_b32_e32 v54, 0, v54, vcc                         // 00000000B4FC: 006C6C80
	v_add_u32_e32 v169, 3, v168                                // 00000000B500: 69535083
	v_cmp_lt_u32_e32 vcc, v169, v219                           // 00000000B504: 7D93B7A9
	s_nop 0                                                    // 00000000B508: BF800000
	v_cndmask_b32_e32 v55, 0, v55, vcc                         // 00000000B50C: 006E6E80
	v_add_u32_e32 v169, 64, v168                               // 00000000B510: 695350C0
	v_cmp_lt_u32_e32 vcc, v169, v219                           // 00000000B514: 7D93B7A9
	s_nop 0                                                    // 00000000B518: BF800000
	v_cndmask_b32_e32 v56, 0, v56, vcc                         // 00000000B51C: 00707080
	v_add_u32_e32 v169, 0x41, v168                             // 00000000B520: 695350FF 00000041
	v_cmp_lt_u32_e32 vcc, v169, v219                           // 00000000B528: 7D93B7A9
	s_nop 0                                                    // 00000000B52C: BF800000
	v_cndmask_b32_e32 v57, 0, v57, vcc                         // 00000000B530: 00727280
	v_add_u32_e32 v169, 0x42, v168                             // 00000000B534: 695350FF 00000042
	v_cmp_lt_u32_e32 vcc, v169, v219                           // 00000000B53C: 7D93B7A9
	s_nop 0                                                    // 00000000B540: BF800000
	v_cndmask_b32_e32 v58, 0, v58, vcc                         // 00000000B544: 00747480
	v_add_u32_e32 v169, 0x43, v168                             // 00000000B548: 695350FF 00000043
	v_cmp_lt_u32_e32 vcc, v169, v219                           // 00000000B550: 7D93B7A9
	s_nop 0                                                    // 00000000B554: BF800000
	v_cndmask_b32_e32 v59, 0, v59, vcc                         // 00000000B558: 00767680
	v_add_u32_e32 v169, 0x80, v168                             // 00000000B55C: 695350FF 00000080
	v_cmp_lt_u32_e32 vcc, v169, v219                           // 00000000B564: 7D93B7A9
	s_nop 0                                                    // 00000000B568: BF800000
	v_cndmask_b32_e32 v60, 0, v60, vcc                         // 00000000B56C: 00787880
	v_add_u32_e32 v169, 0x81, v168                             // 00000000B570: 695350FF 00000081
	v_cmp_lt_u32_e32 vcc, v169, v219                           // 00000000B578: 7D93B7A9
	s_nop 0                                                    // 00000000B57C: BF800000
	v_cndmask_b32_e32 v61, 0, v61, vcc                         // 00000000B580: 007A7A80
	v_add_u32_e32 v169, 0x82, v168                             // 00000000B584: 695350FF 00000082
	v_cmp_lt_u32_e32 vcc, v169, v219                           // 00000000B58C: 7D93B7A9
	s_nop 0                                                    // 00000000B590: BF800000
	v_cndmask_b32_e32 v62, 0, v62, vcc                         // 00000000B594: 007C7C80
	v_add_u32_e32 v169, 0x83, v168                             // 00000000B598: 695350FF 00000083
	v_cmp_lt_u32_e32 vcc, v169, v219                           // 00000000B5A0: 7D93B7A9
	s_nop 0                                                    // 00000000B5A4: BF800000
	v_cndmask_b32_e32 v63, 0, v63, vcc                         // 00000000B5A8: 007E7E80
	v_add_u32_e32 v169, 0xc0, v168                             // 00000000B5AC: 695350FF 000000C0
	v_cmp_lt_u32_e32 vcc, v169, v219                           // 00000000B5B4: 7D93B7A9
	s_nop 0                                                    // 00000000B5B8: BF800000
	v_cndmask_b32_e32 v64, 0, v64, vcc                         // 00000000B5BC: 00808080
	v_add_u32_e32 v169, 0xc1, v168                             // 00000000B5C0: 695350FF 000000C1
	v_cmp_lt_u32_e32 vcc, v169, v219                           // 00000000B5C8: 7D93B7A9
	s_nop 0                                                    // 00000000B5CC: BF800000
	v_cndmask_b32_e32 v65, 0, v65, vcc                         // 00000000B5D0: 00828280
	v_add_u32_e32 v169, 0xc2, v168                             // 00000000B5D4: 695350FF 000000C2
	v_cmp_lt_u32_e32 vcc, v169, v219                           // 00000000B5DC: 7D93B7A9
	s_nop 0                                                    // 00000000B5E0: BF800000
	v_cndmask_b32_e32 v66, 0, v66, vcc                         // 00000000B5E4: 00848480
	v_add_u32_e32 v169, 0xc3, v168                             // 00000000B5E8: 695350FF 000000C3
	v_cmp_lt_u32_e32 vcc, v169, v219                           // 00000000B5F0: 7D93B7A9
	s_nop 0                                                    // 00000000B5F4: BF800000
	v_cndmask_b32_e32 v67, 0, v67, vcc                         // 00000000B5F8: 00868680
	v_add_u32_e32 v169, 0, v168                                // 00000000B5FC: 69535080
	v_cmp_lt_u32_e32 vcc, v169, v220                           // 00000000B600: 7D93B9A9
	s_nop 0                                                    // 00000000B604: BF800000
	v_cndmask_b32_e32 v68, 0, v68, vcc                         // 00000000B608: 00888880
	v_add_u32_e32 v169, 1, v168                                // 00000000B60C: 69535081
	v_cmp_lt_u32_e32 vcc, v169, v220                           // 00000000B610: 7D93B9A9
	s_nop 0                                                    // 00000000B614: BF800000
	v_cndmask_b32_e32 v69, 0, v69, vcc                         // 00000000B618: 008A8A80
	v_add_u32_e32 v169, 2, v168                                // 00000000B61C: 69535082
	v_cmp_lt_u32_e32 vcc, v169, v220                           // 00000000B620: 7D93B9A9
	s_nop 0                                                    // 00000000B624: BF800000
	v_cndmask_b32_e32 v70, 0, v70, vcc                         // 00000000B628: 008C8C80
	v_add_u32_e32 v169, 3, v168                                // 00000000B62C: 69535083
	v_cmp_lt_u32_e32 vcc, v169, v220                           // 00000000B630: 7D93B9A9
	s_nop 0                                                    // 00000000B634: BF800000
	v_cndmask_b32_e32 v71, 0, v71, vcc                         // 00000000B638: 008E8E80
	v_add_u32_e32 v169, 64, v168                               // 00000000B63C: 695350C0
	v_cmp_lt_u32_e32 vcc, v169, v220                           // 00000000B640: 7D93B9A9
	s_nop 0                                                    // 00000000B644: BF800000
	v_cndmask_b32_e32 v72, 0, v72, vcc                         // 00000000B648: 00909080
	v_add_u32_e32 v169, 0x41, v168                             // 00000000B64C: 695350FF 00000041
	v_cmp_lt_u32_e32 vcc, v169, v220                           // 00000000B654: 7D93B9A9
	s_nop 0                                                    // 00000000B658: BF800000
	v_cndmask_b32_e32 v73, 0, v73, vcc                         // 00000000B65C: 00929280
	v_add_u32_e32 v169, 0x42, v168                             // 00000000B660: 695350FF 00000042
	v_cmp_lt_u32_e32 vcc, v169, v220                           // 00000000B668: 7D93B9A9
	s_nop 0                                                    // 00000000B66C: BF800000
	v_cndmask_b32_e32 v74, 0, v74, vcc                         // 00000000B670: 00949480
	v_add_u32_e32 v169, 0x43, v168                             // 00000000B674: 695350FF 00000043
	v_cmp_lt_u32_e32 vcc, v169, v220                           // 00000000B67C: 7D93B9A9
	s_nop 0                                                    // 00000000B680: BF800000
	v_cndmask_b32_e32 v75, 0, v75, vcc                         // 00000000B684: 00969680
	v_add_u32_e32 v169, 0x80, v168                             // 00000000B688: 695350FF 00000080
	v_cmp_lt_u32_e32 vcc, v169, v220                           // 00000000B690: 7D93B9A9
	s_nop 0                                                    // 00000000B694: BF800000
	v_cndmask_b32_e32 v76, 0, v76, vcc                         // 00000000B698: 00989880
	v_add_u32_e32 v169, 0x81, v168                             // 00000000B69C: 695350FF 00000081
	v_cmp_lt_u32_e32 vcc, v169, v220                           // 00000000B6A4: 7D93B9A9
	s_nop 0                                                    // 00000000B6A8: BF800000
	v_cndmask_b32_e32 v77, 0, v77, vcc                         // 00000000B6AC: 009A9A80
	v_add_u32_e32 v169, 0x82, v168                             // 00000000B6B0: 695350FF 00000082
	v_cmp_lt_u32_e32 vcc, v169, v220                           // 00000000B6B8: 7D93B9A9
	s_nop 0                                                    // 00000000B6BC: BF800000
	v_cndmask_b32_e32 v78, 0, v78, vcc                         // 00000000B6C0: 009C9C80
	v_add_u32_e32 v169, 0x83, v168                             // 00000000B6C4: 695350FF 00000083
	v_cmp_lt_u32_e32 vcc, v169, v220                           // 00000000B6CC: 7D93B9A9
	s_nop 0                                                    // 00000000B6D0: BF800000
	v_cndmask_b32_e32 v79, 0, v79, vcc                         // 00000000B6D4: 009E9E80
	v_add_u32_e32 v169, 0xc0, v168                             // 00000000B6D8: 695350FF 000000C0
	v_cmp_lt_u32_e32 vcc, v169, v220                           // 00000000B6E0: 7D93B9A9
	s_nop 0                                                    // 00000000B6E4: BF800000
	v_cndmask_b32_e32 v80, 0, v80, vcc                         // 00000000B6E8: 00A0A080
	v_add_u32_e32 v169, 0xc1, v168                             // 00000000B6EC: 695350FF 000000C1
	v_cmp_lt_u32_e32 vcc, v169, v220                           // 00000000B6F4: 7D93B9A9
	s_nop 0                                                    // 00000000B6F8: BF800000
	v_cndmask_b32_e32 v81, 0, v81, vcc                         // 00000000B6FC: 00A2A280
	v_add_u32_e32 v169, 0xc2, v168                             // 00000000B700: 695350FF 000000C2
	v_cmp_lt_u32_e32 vcc, v169, v220                           // 00000000B708: 7D93B9A9
	s_nop 0                                                    // 00000000B70C: BF800000
	v_cndmask_b32_e32 v82, 0, v82, vcc                         // 00000000B710: 00A4A480
	v_add_u32_e32 v169, 0xc3, v168                             // 00000000B714: 695350FF 000000C3
	v_cmp_lt_u32_e32 vcc, v169, v220                           // 00000000B71C: 7D93B9A9
	s_nop 0                                                    // 00000000B720: BF800000
	v_cndmask_b32_e32 v83, 0, v83, vcc                         // 00000000B724: 00A6A680
	v_add_u32_e32 v168, s64, v223                              // 00000000B728: 6951BE40
	v_add_u32_e32 v169, 0, v168                                // 00000000B72C: 69535080
	v_cmp_lt_u32_e32 vcc, v169, v221                           // 00000000B730: 7D93BBA9
	s_nop 0                                                    // 00000000B734: BF800000
	v_cndmask_b32_e32 v84, 0, v84, vcc                         // 00000000B738: 00A8A880
	v_add_u32_e32 v169, 1, v168                                // 00000000B73C: 69535081
	v_cmp_lt_u32_e32 vcc, v169, v221                           // 00000000B740: 7D93BBA9
	s_nop 0                                                    // 00000000B744: BF800000
	v_cndmask_b32_e32 v85, 0, v85, vcc                         // 00000000B748: 00AAAA80
	v_add_u32_e32 v169, 2, v168                                // 00000000B74C: 69535082
	v_cmp_lt_u32_e32 vcc, v169, v221                           // 00000000B750: 7D93BBA9
	s_nop 0                                                    // 00000000B754: BF800000
	v_cndmask_b32_e32 v86, 0, v86, vcc                         // 00000000B758: 00ACAC80
	v_add_u32_e32 v169, 3, v168                                // 00000000B75C: 69535083
	v_cmp_lt_u32_e32 vcc, v169, v221                           // 00000000B760: 7D93BBA9
	s_nop 0                                                    // 00000000B764: BF800000
	v_cndmask_b32_e32 v87, 0, v87, vcc                         // 00000000B768: 00AEAE80
	v_add_u32_e32 v169, 64, v168                               // 00000000B76C: 695350C0
	v_cmp_lt_u32_e32 vcc, v169, v221                           // 00000000B770: 7D93BBA9
	s_nop 0                                                    // 00000000B774: BF800000
	v_cndmask_b32_e32 v88, 0, v88, vcc                         // 00000000B778: 00B0B080
	v_add_u32_e32 v169, 0x41, v168                             // 00000000B77C: 695350FF 00000041
	v_cmp_lt_u32_e32 vcc, v169, v221                           // 00000000B784: 7D93BBA9
	s_nop 0                                                    // 00000000B788: BF800000
	v_cndmask_b32_e32 v89, 0, v89, vcc                         // 00000000B78C: 00B2B280
	v_add_u32_e32 v169, 0x42, v168                             // 00000000B790: 695350FF 00000042
	v_cmp_lt_u32_e32 vcc, v169, v221                           // 00000000B798: 7D93BBA9
	s_nop 0                                                    // 00000000B79C: BF800000
	v_cndmask_b32_e32 v90, 0, v90, vcc                         // 00000000B7A0: 00B4B480
	v_add_u32_e32 v169, 0x43, v168                             // 00000000B7A4: 695350FF 00000043
	v_cmp_lt_u32_e32 vcc, v169, v221                           // 00000000B7AC: 7D93BBA9
	s_nop 0                                                    // 00000000B7B0: BF800000
	v_cndmask_b32_e32 v91, 0, v91, vcc                         // 00000000B7B4: 00B6B680
	buffer_load_dword v155, v238, s[20:23], 0 offen            // 00000000B7B8: E0501000 80059BEE
	v_sub_f32_e32 v200, v194, v197                             // 00000000B7C0: 05918BC2
	v_cmp_eq_u32_e64 s[98:99], v225, v194                      // 00000000B7C4: D0CA0062 000385E1
	v_cndmask_b32_e64 v200, v200, 0, s[98:99]                  // 00000000B7CC: D10000C8 018901C8
	v_mov_b32_e32 v194, v197                                   // 00000000B7D4: 7F8403C5
	v_mul_f32_e32 v200, s46, v200                              // 00000000B7D8: 0B91902E
	v_exp_f32_e32 v200, v200                                   // 00000000B7DC: 7F9041C8
	v_sub_f32_e32 v202, v195, v198                             // 00000000B7E0: 05958DC3
	v_cmp_eq_u32_e64 s[98:99], v225, v195                      // 00000000B7E4: D0CA0062 000387E1
	v_cndmask_b32_e64 v202, v202, 0, s[98:99]                  // 00000000B7EC: D10000CA 018901CA
	v_mov_b32_e32 v195, v198                                   // 00000000B7F4: 7F8603C6
	v_mul_f32_e32 v202, s46, v202                              // 00000000B7F8: 0B95942E
	v_exp_f32_e32 v202, v202                                   // 00000000B7FC: 7F9441CA
	v_sub_f32_e32 v204, v196, v199                             // 00000000B800: 05998FC4
	v_cmp_eq_u32_e64 s[98:99], v225, v196                      // 00000000B804: D0CA0062 000389E1
	v_cndmask_b32_e64 v204, v204, 0, s[98:99]                  // 00000000B80C: D10000CC 018901CC
	v_mov_b32_e32 v196, v199                                   // 00000000B814: 7F8803C7
	v_mul_f32_e32 v204, s46, v204                              // 00000000B818: 0B99982E
	v_exp_f32_e32 v204, v204                                   // 00000000B81C: 7F9841CC
	v_mov_b32_e32 v201, v200                                   // 00000000B820: 7F9203C8
	v_mov_b32_e32 v203, v202                                   // 00000000B824: 7F9603CA
	v_mov_b32_e32 v205, v204                                   // 00000000B828: 7F9A03CC
	s_waitcnt lgkmcnt(0)                                       // 00000000B82C: BF8CC07F
	s_barrier                                                  // 00000000B830: BF8A0000
	buffer_load_dword v157, v239, s[24:27], 0 offen            // 00000000B834: E0501000 80069DEF
	v_mul_f32_e32 v206, v200, v206                             // 00000000B83C: 0B9D9DC8
	v_mov_b32_e32 v207, 0                                      // 00000000B840: 7F9E0280
	v_pk_add_f32 v[206:207], v[4:5], v[206:207]                // 00000000B844: D3B240CE 18039D04
	v_pk_add_f32 v[206:207], v[6:7], v[206:207]                // 00000000B84C: D3B240CE 18039D06
	v_pk_add_f32 v[206:207], v[8:9], v[206:207]                // 00000000B854: D3B240CE 18039D08
	v_pk_add_f32 v[206:207], v[10:11], v[206:207]              // 00000000B85C: D3B240CE 18039D0A
	v_pk_add_f32 v[206:207], v[12:13], v[206:207]              // 00000000B864: D3B240CE 18039D0C
	v_pk_add_f32 v[206:207], v[14:15], v[206:207]              // 00000000B86C: D3B240CE 18039D0E
	v_pk_add_f32 v[206:207], v[16:17], v[206:207]              // 00000000B874: D3B240CE 18039D10
	v_pk_add_f32 v[206:207], v[18:19], v[206:207]              // 00000000B87C: D3B240CE 18039D12
	v_add_f32_e32 v206, v207, v206                             // 00000000B884: 039D9DCF
	v_mul_f32_e32 v208, v202, v208                             // 00000000B888: 0BA1A1CA
	v_mov_b32_e32 v209, 0                                      // 00000000B88C: 7FA20280
	v_pk_add_f32 v[208:209], v[20:21], v[208:209]              // 00000000B890: D3B240D0 1803A114
	v_pk_add_f32 v[208:209], v[22:23], v[208:209]              // 00000000B898: D3B240D0 1803A116
	v_pk_add_f32 v[208:209], v[24:25], v[208:209]              // 00000000B8A0: D3B240D0 1803A118
	v_pk_add_f32 v[208:209], v[26:27], v[208:209]              // 00000000B8A8: D3B240D0 1803A11A
	v_pk_add_f32 v[208:209], v[28:29], v[208:209]              // 00000000B8B0: D3B240D0 1803A11C
	v_pk_add_f32 v[208:209], v[30:31], v[208:209]              // 00000000B8B8: D3B240D0 1803A11E
	v_pk_add_f32 v[208:209], v[32:33], v[208:209]              // 00000000B8C0: D3B240D0 1803A120
	v_pk_add_f32 v[208:209], v[34:35], v[208:209]              // 00000000B8C8: D3B240D0 1803A122
	v_add_f32_e32 v208, v209, v208                             // 00000000B8D0: 03A1A1D1
	v_mul_f32_e32 v210, v204, v210                             // 00000000B8D4: 0BA5A5CC
	v_mov_b32_e32 v211, 0                                      // 00000000B8D8: 7FA60280
	v_pk_add_f32 v[210:211], v[36:37], v[210:211]              // 00000000B8DC: D3B240D2 1803A524
	v_pk_add_f32 v[210:211], v[38:39], v[210:211]              // 00000000B8E4: D3B240D2 1803A526
	v_pk_add_f32 v[210:211], v[40:41], v[210:211]              // 00000000B8EC: D3B240D2 1803A528
	v_pk_add_f32 v[210:211], v[42:43], v[210:211]              // 00000000B8F4: D3B240D2 1803A52A
	v_add_f32_e32 v210, v211, v210                             // 00000000B8FC: 03A5A5D3
	s_waitcnt lgkmcnt(0)                                       // 00000000B900: BF8CC07F
	v_sub_f32_e32 v188, v188, v194                             // 00000000B904: 057985BC
	v_sub_f32_e32 v189, v189, v195                             // 00000000B908: 057B87BD
	v_sub_f32_e32 v190, v190, v196                             // 00000000B90C: 057D89BE
	v_mul_f32_e32 v188, s46, v188                              // 00000000B910: 0B79782E
	v_mul_f32_e32 v189, s46, v189                              // 00000000B914: 0B7B7A2E
	v_mul_f32_e32 v190, s46, v190                              // 00000000B918: 0B7D7C2E
	v_exp_f32_e32 v188, v188                                   // 00000000B91C: 7F7841BC
	v_exp_f32_e32 v189, v189                                   // 00000000B920: 7F7A41BD
	v_exp_f32_e32 v190, v190                                   // 00000000B924: 7F7C41BE
	v_mul_f32_e32 v188, v156, v188                             // 00000000B928: 0B79799C
	v_mul_f32_e32 v189, v156, v189                             // 00000000B92C: 0B7B7B9C
	v_mul_f32_e32 v190, v156, v190                             // 00000000B930: 0B7D7D9C
	v_add_f32_e32 v188, 0x3089705f, v188                       // 00000000B934: 037978FF 3089705F
	v_add_f32_e32 v189, 0x3089705f, v189                       // 00000000B93C: 037B7AFF 3089705F
	v_add_f32_e32 v190, 0x3089705f, v190                       // 00000000B944: 037D7CFF 3089705F
	v_rcp_f32_e32 v188, v188                                   // 00000000B94C: 7F7845BC
	v_rcp_f32_e32 v189, v189                                   // 00000000B950: 7F7A45BD
	v_rcp_f32_e32 v190, v190                                   // 00000000B954: 7F7C45BE
	v_mul_f32_e32 v188, 0x43700000, v188                       // 00000000B958: 0B7978FF 43700000
	v_mul_f32_e32 v189, 0x43700000, v189                       // 00000000B960: 0B7B7AFF 43700000
	v_mul_f32_e32 v190, 0x43700000, v190                       // 00000000B968: 0B7D7CFF 43700000
	v_mov_b32_e32 v192, v190                                   // 00000000B970: 7F8003BE
	v_mov_b32_e32 v193, v190                                   // 00000000B974: 7F8203BE
	v_mov_b32_e32 v190, v189                                   // 00000000B978: 7F7C03BD
	v_mov_b32_e32 v191, v189                                   // 00000000B97C: 7F7E03BD
	v_mov_b32_e32 v189, v188                                   // 00000000B980: 7F7A03BC
	v_pk_mul_f32 v[4:5], v[188:189], v[52:53]                  // 00000000B984: D3B14004 180269BC
	v_pk_mul_f32 v[6:7], v[188:189], v[54:55]                  // 00000000B98C: D3B14006 18026DBC
	v_pk_mul_f32 v[8:9], v[188:189], v[56:57]                  // 00000000B994: D3B14008 180271BC
	v_pk_mul_f32 v[10:11], v[188:189], v[58:59]                // 00000000B99C: D3B1400A 180275BC
	v_pk_mul_f32 v[12:13], v[188:189], v[60:61]                // 00000000B9A4: D3B1400C 180279BC
	v_pk_mul_f32 v[14:15], v[188:189], v[62:63]                // 00000000B9AC: D3B1400E 18027DBC
	v_pk_mul_f32 v[16:17], v[188:189], v[64:65]                // 00000000B9B4: D3B14010 180281BC
	v_pk_mul_f32 v[18:19], v[188:189], v[66:67]                // 00000000B9BC: D3B14012 180285BC
	v_pk_mul_f32 v[20:21], v[190:191], v[68:69]                // 00000000B9C4: D3B14014 180289BE
	v_pk_mul_f32 v[22:23], v[190:191], v[70:71]                // 00000000B9CC: D3B14016 18028DBE
	v_pk_mul_f32 v[24:25], v[190:191], v[72:73]                // 00000000B9D4: D3B14018 180291BE
	v_pk_mul_f32 v[26:27], v[190:191], v[74:75]                // 00000000B9DC: D3B1401A 180295BE
	v_pk_mul_f32 v[28:29], v[190:191], v[76:77]                // 00000000B9E4: D3B1401C 180299BE
	v_pk_mul_f32 v[30:31], v[190:191], v[78:79]                // 00000000B9EC: D3B1401E 18029DBE
	v_pk_mul_f32 v[32:33], v[190:191], v[80:81]                // 00000000B9F4: D3B14020 1802A1BE
	v_pk_mul_f32 v[34:35], v[190:191], v[82:83]                // 00000000B9FC: D3B14022 1802A5BE
	v_pk_mul_f32 v[36:37], v[192:193], v[84:85]                // 00000000BA04: D3B14024 1802A9C0
	v_pk_mul_f32 v[38:39], v[192:193], v[86:87]                // 00000000BA0C: D3B14026 1802ADC0
	v_pk_mul_f32 v[40:41], v[192:193], v[88:89]                // 00000000BA14: D3B14028 1802B1C0
	v_pk_mul_f32 v[42:43], v[192:193], v[90:91]                // 00000000BA1C: D3B1402A 1802B5C0
	v_cvt_pk_fp8_f32 v4, v4, v5                                // 00000000BA24: D2A20004 00020B04
	v_cvt_pk_fp8_f32 v4, v6, v7 op_sel:[0,0,1]                 // 00000000BA2C: D2A24004 00020F06
	v_cvt_pk_fp8_f32 v5, v8, v9                                // 00000000BA34: D2A20005 00021308
	v_cvt_pk_fp8_f32 v5, v10, v11 op_sel:[0,0,1]               // 00000000BA3C: D2A24005 0002170A
	v_cvt_pk_fp8_f32 v6, v12, v13                              // 00000000BA44: D2A20006 00021B0C
	v_cvt_pk_fp8_f32 v6, v14, v15 op_sel:[0,0,1]               // 00000000BA4C: D2A24006 00021F0E
	v_cvt_pk_fp8_f32 v7, v16, v17                              // 00000000BA54: D2A20007 00022310
	v_cvt_pk_fp8_f32 v7, v18, v19 op_sel:[0,0,1]               // 00000000BA5C: D2A24007 00022712
	v_cvt_pk_fp8_f32 v8, v20, v21                              // 00000000BA64: D2A20008 00022B14
	v_cvt_pk_fp8_f32 v8, v22, v23 op_sel:[0,0,1]               // 00000000BA6C: D2A24008 00022F16
	v_cvt_pk_fp8_f32 v9, v24, v25                              // 00000000BA74: D2A20009 00023318
	v_cvt_pk_fp8_f32 v9, v26, v27 op_sel:[0,0,1]               // 00000000BA7C: D2A24009 0002371A
	v_cvt_pk_fp8_f32 v10, v28, v29                             // 00000000BA84: D2A2000A 00023B1C
	v_cvt_pk_fp8_f32 v10, v30, v31 op_sel:[0,0,1]              // 00000000BA8C: D2A2400A 00023F1E
	v_cvt_pk_fp8_f32 v11, v32, v33                             // 00000000BA94: D2A2000B 00024320
	v_cvt_pk_fp8_f32 v11, v34, v35 op_sel:[0,0,1]              // 00000000BA9C: D2A2400B 00024722
	v_cvt_pk_fp8_f32 v12, v36, v37                             // 00000000BAA4: D2A2000C 00024B24
	v_cvt_pk_fp8_f32 v12, v38, v39 op_sel:[0,0,1]              // 00000000BAAC: D2A2400C 00024F26
	v_cvt_pk_fp8_f32 v13, v40, v41                             // 00000000BAB4: D2A2000D 00025328
	v_cvt_pk_fp8_f32 v13, v42, v43 op_sel:[0,0,1]              // 00000000BABC: D2A2400D 0002572A
	v_mov_b32_dpp v14, v12 row_shl:8 row_mask:0xf bank_mask:0xf bound_ctrl:1// 00000000BAC4: 7E1C02FA FF09080C
	v_and_b32_e32 v12, v12, v224                               // 00000000BACC: 2619C10C
	v_mov_b32_dpp v15, v13 row_shl:8 row_mask:0xf bank_mask:0xf bound_ctrl:1// 00000000BAD0: 7E1E02FA FF09080D
	v_and_b32_e32 v13, v13, v224                               // 00000000BAD8: 261BC10D
	ds_write_b32 v254, v4 offset:8192                          // 00000000BADC: D81A2000 000004FE
	ds_write_b32 v254, v5 offset:9216                          // 00000000BAE4: D81A2400 000005FE
	ds_write_b32 v254, v6 offset:10240                         // 00000000BAEC: D81A2800 000006FE
	ds_write_b32 v254, v7 offset:11264                         // 00000000BAF4: D81A2C00 000007FE
	ds_write_b32 v254, v8 offset:12288                         // 00000000BAFC: D81A3000 000008FE
	ds_write_b32 v254, v9 offset:13312                         // 00000000BB04: D81A3400 000009FE
	ds_write_b32 v254, v10 offset:14336                        // 00000000BB0C: D81A3800 00000AFE
	ds_write_b32 v254, v11 offset:15360                        // 00000000BB14: D81A3C00 00000BFE
	ds_write_b32 v254, v12 offset:16384                        // 00000000BB1C: D81A4000 00000CFE
	ds_write_b32 v254, v13 offset:17408                        // 00000000BB24: D81A4400 00000DFE
	ds_write_b32 v254, v14 offset:18432                        // 00000000BB2C: D81A4800 00000EFE
	ds_write_b32 v254, v15 offset:19456                        // 00000000BB34: D81A4C00 00000FFE
	v_rcp_f32_e32 v158, v188                                   // 00000000BB3C: 7F3C45BC
	v_rcp_f32_e32 v160, v190                                   // 00000000BB40: 7F4045BE
	v_rcp_f32_e32 v162, v192                                   // 00000000BB44: 7F4445C0
	v_mov_b32_e32 v159, v158                                   // 00000000BB48: 7F3E039E
	v_mov_b32_e32 v161, v160                                   // 00000000BB4C: 7F4203A0
	v_mov_b32_e32 v163, v162                                   // 00000000BB50: 7F4603A2
	v_pk_add_f32 v[124:125], v[124:125], v[100:101]            // 00000000BB54: D3B2407C 1802C97C
	v_pk_add_f32 v[126:127], v[126:127], v[102:103]            // 00000000BB5C: D3B2407E 1802CD7E
	v_pk_add_f32 v[128:129], v[128:129], v[104:105]            // 00000000BB64: D3B24080 1802D180
	v_pk_add_f32 v[130:131], v[130:131], v[106:107]            // 00000000BB6C: D3B24082 1802D582
	v_pk_add_f32 v[132:133], v[132:133], v[108:109]            // 00000000BB74: D3B24084 1802D984
	v_pk_add_f32 v[134:135], v[134:135], v[110:111]            // 00000000BB7C: D3B24086 1802DD86
	v_pk_add_f32 v[136:137], v[136:137], v[112:113]            // 00000000BB84: D3B24088 1802E188
	v_pk_add_f32 v[138:139], v[138:139], v[114:115]            // 00000000BB8C: D3B2408A 1802E58A
	v_pk_add_f32 v[140:141], v[140:141], v[116:117]            // 00000000BB94: D3B2408C 1802E98C
	v_pk_add_f32 v[142:143], v[142:143], v[118:119]            // 00000000BB9C: D3B2408E 1802ED8E
	v_pk_add_f32 v[144:145], v[144:145], v[120:121]            // 00000000BBA4: D3B24090 1802F190
	v_pk_add_f32 v[146:147], v[146:147], v[122:123]            // 00000000BBAC: D3B24092 1802F592
	s_waitcnt lgkmcnt(0)                                       // 00000000BBB4: BF8CC07F
	s_barrier                                                  // 00000000BBB8: BF8A0000
	ds_read_b128 v[4:7], v255 offset:8192                      // 00000000BBBC: D9FE2000 040000FF
	ds_read_b128 v[8:11], v255 offset:9216                     // 00000000BBC4: D9FE2400 080000FF
	ds_read_b128 v[12:15], v255 offset:10240                   // 00000000BBCC: D9FE2800 0C0000FF
	ds_read_b128 v[16:19], v255 offset:11264                   // 00000000BBD4: D9FE2C00 100000FF
	ds_read_b128 v[20:23], v255 offset:12288                   // 00000000BBDC: D9FE3000 140000FF
	ds_read_b128 v[24:27], v255 offset:13312                   // 00000000BBE4: D9FE3400 180000FF
	ds_read_b128 v[28:31], v255 offset:14336                   // 00000000BBEC: D9FE3800 1C0000FF
	ds_read_b128 v[32:35], v255 offset:15360                   // 00000000BBF4: D9FE3C00 200000FF
	ds_read_b128 v[36:39], v255 offset:16384                   // 00000000BBFC: D9FE4000 240000FF
	ds_read_b128 v[40:43], v255 offset:17408                   // 00000000BC04: D9FE4400 280000FF
	ds_read_b128 v[44:47], v255 offset:18432                   // 00000000BC0C: D9FE4800 2C0000FF
	ds_read_b128 v[48:51], v255 offset:19456                   // 00000000BC14: D9FE4C00 300000FF
	s_waitcnt vmcnt(10)                                        // 00000000BC1C: BF8C0F7A
	v_lshrrev_b32_e32 v1, 4, v0                                // 00000000BC20: 20020084
	v_lshlrev_b32_e32 v1, 4, v1                                // 00000000BC24: 24020284
	v_add_u32_e32 v168, s64, v1                                // 00000000BC28: 69500240
	v_add_u32_e32 v168, 4, v168                                // 00000000BC2C: 69515084
	v_sub_i32 v168, v168, s62                                  // 00000000BC30: D29D00A8 00007DA8
	s_mov_b32 s54, 0                                           // 00000000BC38: BEB60080
	v_add_i32 v169, s54, v168                                  // 00000000BC3C: D29C00A9 00035036
	v_cmp_lt_i32_e64 vcc, v169, 4                              // 00000000BC44: D0C1006A 000109A9
	v_min_u32_e32 v169, 4, v169                                // 00000000BC4C: 1D535284
	v_lshlrev_b32_e32 v169, 3, v169                            // 00000000BC50: 25535283
	v_lshrrev_b32_e64 v170, v169, -1                           // 00000000BC54: D11000AA 000183A9
	v_accvgpr_read_b32 v171, a88                               // 00000000BC5C: D3D840AB 18000158
	v_cndmask_b32_e32 v171, 0, v171, vcc                       // 00000000BC64: 01575680
	v_and_b32_e32 v171, v171, v170                             // 00000000BC68: 275755AB
	v_accvgpr_write_b32 a88, v171                              // 00000000BC6C: D3D94058 180001AB
	v_accvgpr_read_b32 v171, a104                              // 00000000BC74: D3D840AB 18000168
	v_cndmask_b32_e32 v171, 0, v171, vcc                       // 00000000BC7C: 01575680
	v_and_b32_e32 v171, v171, v170                             // 00000000BC80: 275755AB
	v_accvgpr_write_b32 a104, v171                             // 00000000BC84: D3D94068 180001AB
	s_mov_b32 s54, 4                                           // 00000000BC8C: BEB60084
	v_add_i32 v169, s54, v168                                  // 00000000BC90: D29C00A9 00035036
	v_cmp_lt_i32_e64 vcc, v169, 4                              // 00000000BC98: D0C1006A 000109A9
	v_min_u32_e32 v169, 4, v169                                // 00000000BCA0: 1D535284
	v_lshlrev_b32_e32 v169, 3, v169                            // 00000000BCA4: 25535283
	v_lshrrev_b32_e64 v170, v169, -1                           // 00000000BCA8: D11000AA 000183A9
	v_accvgpr_read_b32 v171, a89                               // 00000000BCB0: D3D840AB 18000159
	v_cndmask_b32_e32 v171, 0, v171, vcc                       // 00000000BCB8: 01575680
	v_and_b32_e32 v171, v171, v170                             // 00000000BCBC: 275755AB
	v_accvgpr_write_b32 a89, v171                              // 00000000BCC0: D3D94059 180001AB
	v_accvgpr_read_b32 v171, a105                              // 00000000BCC8: D3D840AB 18000169
	v_cndmask_b32_e32 v171, 0, v171, vcc                       // 00000000BCD0: 01575680
	v_and_b32_e32 v171, v171, v170                             // 00000000BCD4: 275755AB
	v_accvgpr_write_b32 a105, v171                             // 00000000BCD8: D3D94069 180001AB
	s_mov_b32 s54, 8                                           // 00000000BCE0: BEB60088
	v_add_i32 v169, s54, v168                                  // 00000000BCE4: D29C00A9 00035036
	v_cmp_lt_i32_e64 vcc, v169, 4                              // 00000000BCEC: D0C1006A 000109A9
	v_min_u32_e32 v169, 4, v169                                // 00000000BCF4: 1D535284
	v_lshlrev_b32_e32 v169, 3, v169                            // 00000000BCF8: 25535283
	v_lshrrev_b32_e64 v170, v169, -1                           // 00000000BCFC: D11000AA 000183A9
	v_accvgpr_read_b32 v171, a90                               // 00000000BD04: D3D840AB 1800015A
	v_cndmask_b32_e32 v171, 0, v171, vcc                       // 00000000BD0C: 01575680
	v_and_b32_e32 v171, v171, v170                             // 00000000BD10: 275755AB
	v_accvgpr_write_b32 a90, v171                              // 00000000BD14: D3D9405A 180001AB
	v_accvgpr_read_b32 v171, a106                              // 00000000BD1C: D3D840AB 1800016A
	v_cndmask_b32_e32 v171, 0, v171, vcc                       // 00000000BD24: 01575680
	v_and_b32_e32 v171, v171, v170                             // 00000000BD28: 275755AB
	v_accvgpr_write_b32 a106, v171                             // 00000000BD2C: D3D9406A 180001AB
	s_mov_b32 s54, 12                                          // 00000000BD34: BEB6008C
	v_add_i32 v169, s54, v168                                  // 00000000BD38: D29C00A9 00035036
	v_cmp_lt_i32_e64 vcc, v169, 4                              // 00000000BD40: D0C1006A 000109A9
	v_min_u32_e32 v169, 4, v169                                // 00000000BD48: 1D535284
	v_lshlrev_b32_e32 v169, 3, v169                            // 00000000BD4C: 25535283
	v_lshrrev_b32_e64 v170, v169, -1                           // 00000000BD50: D11000AA 000183A9
	v_accvgpr_read_b32 v171, a91                               // 00000000BD58: D3D840AB 1800015B
	v_cndmask_b32_e32 v171, 0, v171, vcc                       // 00000000BD60: 01575680
	v_and_b32_e32 v171, v171, v170                             // 00000000BD64: 275755AB
	v_accvgpr_write_b32 a91, v171                              // 00000000BD68: D3D9405B 180001AB
	v_accvgpr_read_b32 v171, a107                              // 00000000BD70: D3D840AB 1800016B
	v_cndmask_b32_e32 v171, 0, v171, vcc                       // 00000000BD78: 01575680
	v_and_b32_e32 v171, v171, v170                             // 00000000BD7C: 275755AB
	v_accvgpr_write_b32 a107, v171                             // 00000000BD80: D3D9406B 180001AB
	s_mov_b32 s54, 64                                          // 00000000BD88: BEB600C0
	v_add_i32 v169, s54, v168                                  // 00000000BD8C: D29C00A9 00035036
	v_cmp_lt_i32_e64 vcc, v169, 4                              // 00000000BD94: D0C1006A 000109A9
	v_min_u32_e32 v169, 4, v169                                // 00000000BD9C: 1D535284
	v_lshlrev_b32_e32 v169, 3, v169                            // 00000000BDA0: 25535283
	v_lshrrev_b32_e64 v170, v169, -1                           // 00000000BDA4: D11000AA 000183A9
	v_accvgpr_read_b32 v171, a92                               // 00000000BDAC: D3D840AB 1800015C
	v_cndmask_b32_e32 v171, 0, v171, vcc                       // 00000000BDB4: 01575680
	v_and_b32_e32 v171, v171, v170                             // 00000000BDB8: 275755AB
	v_accvgpr_write_b32 a92, v171                              // 00000000BDBC: D3D9405C 180001AB
	v_accvgpr_read_b32 v171, a108                              // 00000000BDC4: D3D840AB 1800016C
	v_cndmask_b32_e32 v171, 0, v171, vcc                       // 00000000BDCC: 01575680
	v_and_b32_e32 v171, v171, v170                             // 00000000BDD0: 275755AB
	v_accvgpr_write_b32 a108, v171                             // 00000000BDD4: D3D9406C 180001AB
	s_mov_b32 s54, 0x44                                        // 00000000BDDC: BEB600FF 00000044
	v_add_i32 v169, s54, v168                                  // 00000000BDE4: D29C00A9 00035036
	v_cmp_lt_i32_e64 vcc, v169, 4                              // 00000000BDEC: D0C1006A 000109A9
	v_min_u32_e32 v169, 4, v169                                // 00000000BDF4: 1D535284
	v_lshlrev_b32_e32 v169, 3, v169                            // 00000000BDF8: 25535283
	v_lshrrev_b32_e64 v170, v169, -1                           // 00000000BDFC: D11000AA 000183A9
	v_accvgpr_read_b32 v171, a93                               // 00000000BE04: D3D840AB 1800015D
	v_cndmask_b32_e32 v171, 0, v171, vcc                       // 00000000BE0C: 01575680
	v_and_b32_e32 v171, v171, v170                             // 00000000BE10: 275755AB
	v_accvgpr_write_b32 a93, v171                              // 00000000BE14: D3D9405D 180001AB
	v_accvgpr_read_b32 v171, a109                              // 00000000BE1C: D3D840AB 1800016D
	v_cndmask_b32_e32 v171, 0, v171, vcc                       // 00000000BE24: 01575680
	v_and_b32_e32 v171, v171, v170                             // 00000000BE28: 275755AB
	v_accvgpr_write_b32 a109, v171                             // 00000000BE2C: D3D9406D 180001AB
	s_mov_b32 s54, 0x48                                        // 00000000BE34: BEB600FF 00000048
	v_add_i32 v169, s54, v168                                  // 00000000BE3C: D29C00A9 00035036
	v_cmp_lt_i32_e64 vcc, v169, 4                              // 00000000BE44: D0C1006A 000109A9
	v_min_u32_e32 v169, 4, v169                                // 00000000BE4C: 1D535284
	v_lshlrev_b32_e32 v169, 3, v169                            // 00000000BE50: 25535283
	v_lshrrev_b32_e64 v170, v169, -1                           // 00000000BE54: D11000AA 000183A9
	v_accvgpr_read_b32 v171, a94                               // 00000000BE5C: D3D840AB 1800015E
	v_cndmask_b32_e32 v171, 0, v171, vcc                       // 00000000BE64: 01575680
	v_and_b32_e32 v171, v171, v170                             // 00000000BE68: 275755AB
	v_accvgpr_write_b32 a94, v171                              // 00000000BE6C: D3D9405E 180001AB
	v_accvgpr_read_b32 v171, a110                              // 00000000BE74: D3D840AB 1800016E
	v_cndmask_b32_e32 v171, 0, v171, vcc                       // 00000000BE7C: 01575680
	v_and_b32_e32 v171, v171, v170                             // 00000000BE80: 275755AB
	v_accvgpr_write_b32 a110, v171                             // 00000000BE84: D3D9406E 180001AB
	s_mov_b32 s54, 0x4c                                        // 00000000BE8C: BEB600FF 0000004C
	v_add_i32 v169, s54, v168                                  // 00000000BE94: D29C00A9 00035036
	v_cmp_lt_i32_e64 vcc, v169, 4                              // 00000000BE9C: D0C1006A 000109A9
	v_min_u32_e32 v169, 4, v169                                // 00000000BEA4: 1D535284
	v_lshlrev_b32_e32 v169, 3, v169                            // 00000000BEA8: 25535283
	v_lshrrev_b32_e64 v170, v169, -1                           // 00000000BEAC: D11000AA 000183A9
	v_accvgpr_read_b32 v171, a95                               // 00000000BEB4: D3D840AB 1800015F
	v_cndmask_b32_e32 v171, 0, v171, vcc                       // 00000000BEBC: 01575680
	v_and_b32_e32 v171, v171, v170                             // 00000000BEC0: 275755AB
	v_accvgpr_write_b32 a95, v171                              // 00000000BEC4: D3D9405F 180001AB
	v_accvgpr_read_b32 v171, a111                              // 00000000BECC: D3D840AB 1800016F
	v_cndmask_b32_e32 v171, 0, v171, vcc                       // 00000000BED4: 01575680
	v_and_b32_e32 v171, v171, v170                             // 00000000BED8: 275755AB
	v_accvgpr_write_b32 a111, v171                             // 00000000BEDC: D3D9406F 180001AB
	s_mov_b32 s54, 0x80                                        // 00000000BEE4: BEB600FF 00000080
	v_add_i32 v169, s54, v168                                  // 00000000BEEC: D29C00A9 00035036
	v_cmp_lt_i32_e64 vcc, v169, 4                              // 00000000BEF4: D0C1006A 000109A9
	v_min_u32_e32 v169, 4, v169                                // 00000000BEFC: 1D535284
	v_lshlrev_b32_e32 v169, 3, v169                            // 00000000BF00: 25535283
	v_lshrrev_b32_e64 v170, v169, -1                           // 00000000BF04: D11000AA 000183A9
	v_accvgpr_read_b32 v171, a96                               // 00000000BF0C: D3D840AB 18000160
	v_cndmask_b32_e32 v171, 0, v171, vcc                       // 00000000BF14: 01575680
	v_and_b32_e32 v171, v171, v170                             // 00000000BF18: 275755AB
	v_accvgpr_write_b32 a96, v171                              // 00000000BF1C: D3D94060 180001AB
	v_accvgpr_read_b32 v171, a112                              // 00000000BF24: D3D840AB 18000170
	v_cndmask_b32_e32 v171, 0, v171, vcc                       // 00000000BF2C: 01575680
	v_and_b32_e32 v171, v171, v170                             // 00000000BF30: 275755AB
	v_accvgpr_write_b32 a112, v171                             // 00000000BF34: D3D94070 180001AB
	s_mov_b32 s54, 0x84                                        // 00000000BF3C: BEB600FF 00000084
	v_add_i32 v169, s54, v168                                  // 00000000BF44: D29C00A9 00035036
	v_cmp_lt_i32_e64 vcc, v169, 4                              // 00000000BF4C: D0C1006A 000109A9
	v_min_u32_e32 v169, 4, v169                                // 00000000BF54: 1D535284
	v_lshlrev_b32_e32 v169, 3, v169                            // 00000000BF58: 25535283
	v_lshrrev_b32_e64 v170, v169, -1                           // 00000000BF5C: D11000AA 000183A9
	v_accvgpr_read_b32 v171, a97                               // 00000000BF64: D3D840AB 18000161
	v_cndmask_b32_e32 v171, 0, v171, vcc                       // 00000000BF6C: 01575680
	v_and_b32_e32 v171, v171, v170                             // 00000000BF70: 275755AB
	v_accvgpr_write_b32 a97, v171                              // 00000000BF74: D3D94061 180001AB
	v_accvgpr_read_b32 v171, a113                              // 00000000BF7C: D3D840AB 18000171
	v_cndmask_b32_e32 v171, 0, v171, vcc                       // 00000000BF84: 01575680
	v_and_b32_e32 v171, v171, v170                             // 00000000BF88: 275755AB
	v_accvgpr_write_b32 a113, v171                             // 00000000BF8C: D3D94071 180001AB
	s_mov_b32 s54, 0x88                                        // 00000000BF94: BEB600FF 00000088
	v_add_i32 v169, s54, v168                                  // 00000000BF9C: D29C00A9 00035036
	v_cmp_lt_i32_e64 vcc, v169, 4                              // 00000000BFA4: D0C1006A 000109A9
	v_min_u32_e32 v169, 4, v169                                // 00000000BFAC: 1D535284
	v_lshlrev_b32_e32 v169, 3, v169                            // 00000000BFB0: 25535283
	v_lshrrev_b32_e64 v170, v169, -1                           // 00000000BFB4: D11000AA 000183A9
	v_accvgpr_read_b32 v171, a98                               // 00000000BFBC: D3D840AB 18000162
	v_cndmask_b32_e32 v171, 0, v171, vcc                       // 00000000BFC4: 01575680
	v_and_b32_e32 v171, v171, v170                             // 00000000BFC8: 275755AB
	v_accvgpr_write_b32 a98, v171                              // 00000000BFCC: D3D94062 180001AB
	v_accvgpr_read_b32 v171, a114                              // 00000000BFD4: D3D840AB 18000172
	v_cndmask_b32_e32 v171, 0, v171, vcc                       // 00000000BFDC: 01575680
	v_and_b32_e32 v171, v171, v170                             // 00000000BFE0: 275755AB
	v_accvgpr_write_b32 a114, v171                             // 00000000BFE4: D3D94072 180001AB
	s_mov_b32 s54, 0x8c                                        // 00000000BFEC: BEB600FF 0000008C
	v_add_i32 v169, s54, v168                                  // 00000000BFF4: D29C00A9 00035036
	v_cmp_lt_i32_e64 vcc, v169, 4                              // 00000000BFFC: D0C1006A 000109A9
	v_min_u32_e32 v169, 4, v169                                // 00000000C004: 1D535284
	v_lshlrev_b32_e32 v169, 3, v169                            // 00000000C008: 25535283
	v_lshrrev_b32_e64 v170, v169, -1                           // 00000000C00C: D11000AA 000183A9
	v_accvgpr_read_b32 v171, a99                               // 00000000C014: D3D840AB 18000163
	v_cndmask_b32_e32 v171, 0, v171, vcc                       // 00000000C01C: 01575680
	v_and_b32_e32 v171, v171, v170                             // 00000000C020: 275755AB
	v_accvgpr_write_b32 a99, v171                              // 00000000C024: D3D94063 180001AB
	v_accvgpr_read_b32 v171, a115                              // 00000000C02C: D3D840AB 18000173
	v_cndmask_b32_e32 v171, 0, v171, vcc                       // 00000000C034: 01575680
	v_and_b32_e32 v171, v171, v170                             // 00000000C038: 275755AB
	v_accvgpr_write_b32 a115, v171                             // 00000000C03C: D3D94073 180001AB
	s_mov_b32 s54, 0xc0                                        // 00000000C044: BEB600FF 000000C0
	v_add_i32 v169, s54, v168                                  // 00000000C04C: D29C00A9 00035036
	v_cmp_lt_i32_e64 vcc, v169, 4                              // 00000000C054: D0C1006A 000109A9
	v_min_u32_e32 v169, 4, v169                                // 00000000C05C: 1D535284
	v_lshlrev_b32_e32 v169, 3, v169                            // 00000000C060: 25535283
	v_lshrrev_b32_e64 v170, v169, -1                           // 00000000C064: D11000AA 000183A9
	v_accvgpr_read_b32 v171, a100                              // 00000000C06C: D3D840AB 18000164
	v_cndmask_b32_e32 v171, 0, v171, vcc                       // 00000000C074: 01575680
	v_and_b32_e32 v171, v171, v170                             // 00000000C078: 275755AB
	v_accvgpr_write_b32 a100, v171                             // 00000000C07C: D3D94064 180001AB
	v_accvgpr_read_b32 v171, a116                              // 00000000C084: D3D840AB 18000174
	v_cndmask_b32_e32 v171, 0, v171, vcc                       // 00000000C08C: 01575680
	v_and_b32_e32 v171, v171, v170                             // 00000000C090: 275755AB
	v_accvgpr_write_b32 a116, v171                             // 00000000C094: D3D94074 180001AB
	s_mov_b32 s54, 0xc4                                        // 00000000C09C: BEB600FF 000000C4
	v_add_i32 v169, s54, v168                                  // 00000000C0A4: D29C00A9 00035036
	v_cmp_lt_i32_e64 vcc, v169, 4                              // 00000000C0AC: D0C1006A 000109A9
	v_min_u32_e32 v169, 4, v169                                // 00000000C0B4: 1D535284
	v_lshlrev_b32_e32 v169, 3, v169                            // 00000000C0B8: 25535283
	v_lshrrev_b32_e64 v170, v169, -1                           // 00000000C0BC: D11000AA 000183A9
	v_accvgpr_read_b32 v171, a101                              // 00000000C0C4: D3D840AB 18000165
	v_cndmask_b32_e32 v171, 0, v171, vcc                       // 00000000C0CC: 01575680
	v_and_b32_e32 v171, v171, v170                             // 00000000C0D0: 275755AB
	v_accvgpr_write_b32 a101, v171                             // 00000000C0D4: D3D94065 180001AB
	v_accvgpr_read_b32 v171, a117                              // 00000000C0DC: D3D840AB 18000175
	v_cndmask_b32_e32 v171, 0, v171, vcc                       // 00000000C0E4: 01575680
	v_and_b32_e32 v171, v171, v170                             // 00000000C0E8: 275755AB
	v_accvgpr_write_b32 a117, v171                             // 00000000C0EC: D3D94075 180001AB
	s_mov_b32 s54, 0xc8                                        // 00000000C0F4: BEB600FF 000000C8
	v_add_i32 v169, s54, v168                                  // 00000000C0FC: D29C00A9 00035036
	v_cmp_lt_i32_e64 vcc, v169, 4                              // 00000000C104: D0C1006A 000109A9
	v_min_u32_e32 v169, 4, v169                                // 00000000C10C: 1D535284
	v_lshlrev_b32_e32 v169, 3, v169                            // 00000000C110: 25535283
	v_lshrrev_b32_e64 v170, v169, -1                           // 00000000C114: D11000AA 000183A9
	v_accvgpr_read_b32 v171, a102                              // 00000000C11C: D3D840AB 18000166
	v_cndmask_b32_e32 v171, 0, v171, vcc                       // 00000000C124: 01575680
	v_and_b32_e32 v171, v171, v170                             // 00000000C128: 275755AB
	v_accvgpr_write_b32 a102, v171                             // 00000000C12C: D3D94066 180001AB
	v_accvgpr_read_b32 v171, a118                              // 00000000C134: D3D840AB 18000176
	v_cndmask_b32_e32 v171, 0, v171, vcc                       // 00000000C13C: 01575680
	v_and_b32_e32 v171, v171, v170                             // 00000000C140: 275755AB
	v_accvgpr_write_b32 a118, v171                             // 00000000C144: D3D94076 180001AB
	s_mov_b32 s54, 0xcc                                        // 00000000C14C: BEB600FF 000000CC
	v_add_i32 v169, s54, v168                                  // 00000000C154: D29C00A9 00035036
	v_cmp_lt_i32_e64 vcc, v169, 4                              // 00000000C15C: D0C1006A 000109A9
	v_min_u32_e32 v169, 4, v169                                // 00000000C164: 1D535284
	v_lshlrev_b32_e32 v169, 3, v169                            // 00000000C168: 25535283
	v_lshrrev_b32_e64 v170, v169, -1                           // 00000000C16C: D11000AA 000183A9
	v_accvgpr_read_b32 v171, a103                              // 00000000C174: D3D840AB 18000167
	v_cndmask_b32_e32 v171, 0, v171, vcc                       // 00000000C17C: 01575680
	v_and_b32_e32 v171, v171, v170                             // 00000000C180: 275755AB
	v_accvgpr_write_b32 a103, v171                             // 00000000C184: D3D94067 180001AB
	v_accvgpr_read_b32 v171, a119                              // 00000000C18C: D3D840AB 18000177
	v_cndmask_b32_e32 v171, 0, v171, vcc                       // 00000000C194: 01575680
	v_and_b32_e32 v171, v171, v170                             // 00000000C198: 275755AB
	v_accvgpr_write_b32 a119, v171                             // 00000000C19C: D3D94077 180001AB
	s_waitcnt lgkmcnt(11)                                      // 00000000C1A4: BF8CCB7F
	v_mfma_f32_16x16x32_fp8_fp8 v[100:103], a[88:89], v[4:5], 0// 00000000C1A8: D3F30064 0A020958
	s_lshl_b32 s68, s76, 2                                     // 00000000C1B0: 8E44824C
	v_mfma_f32_16x16x32_fp8_fp8 v[104:107], a[104:105], v[4:5], 0// 00000000C1B4: D3F30068 0A020968
	s_cmp_lt_u32 s76, s77                                      // 00000000C1BC: BF0A4D4C
	s_cselect_b32 s68, s68, 0                                  // 00000000C1C0: 85448044
	v_mfma_f32_16x16x32_fp8_fp8 v[100:103], a[90:91], v[6:7], v[100:103]// 00000000C1C4: D3F30064 0D920D5A
	buffer_load_dwordx4 a[120:123], v234, s[16:19], 0 offen    // 00000000C1CC: E05C1000 808478EA
	v_mfma_f32_16x16x32_fp8_fp8 v[104:107], a[106:107], v[6:7], v[104:107]// 00000000C1D4: D3F30068 0DA20D6A
	s_addk_i32 s76, 0x1                                        // 00000000C1DC: B74C0001
	s_waitcnt lgkmcnt(10)                                      // 00000000C1E0: BF8CCA7F
	v_mfma_f32_16x16x32_fp8_fp8 v[100:103], a[92:93], v[8:9], v[100:103]// 00000000C1E4: D3F30064 0D92115C
	v_mfma_f32_16x16x32_fp8_fp8 v[104:107], a[108:109], v[8:9], v[104:107]// 00000000C1EC: D3F30068 0DA2116C
	v_mfma_f32_16x16x32_fp8_fp8 v[100:103], a[94:95], v[10:11], v[100:103]// 00000000C1F4: D3F30064 0D92155E
	buffer_load_dwordx4 a[124:127], v235, s[16:19], 0 offen    // 00000000C1FC: E05C1000 80847CEB
	v_mfma_f32_16x16x32_fp8_fp8 v[104:107], a[110:111], v[10:11], v[104:107]// 00000000C204: D3F30068 0DA2156E
	s_waitcnt lgkmcnt(9)                                       // 00000000C20C: BF8CC97F
	v_mfma_f32_16x16x32_fp8_fp8 v[100:103], a[96:97], v[12:13], v[100:103]// 00000000C210: D3F30064 0D921960
	v_mfma_f32_16x16x32_fp8_fp8 v[104:107], a[112:113], v[12:13], v[104:107]// 00000000C218: D3F30068 0DA21970
	v_mfma_f32_16x16x32_fp8_fp8 v[100:103], a[98:99], v[14:15], v[100:103]// 00000000C220: D3F30064 0D921D62
	buffer_load_dwordx4 a[128:131], v236, s[16:19], 0 offen    // 00000000C228: E05C1000 808480EC
	v_mfma_f32_16x16x32_fp8_fp8 v[104:107], a[114:115], v[14:15], v[104:107]// 00000000C230: D3F30068 0DA21D72
	s_waitcnt lgkmcnt(8)                                       // 00000000C238: BF8CC87F
	v_mfma_f32_16x16x32_fp8_fp8 v[100:103], a[100:101], v[16:17], v[100:103]// 00000000C23C: D3F30064 0D922164
	v_mfma_f32_16x16x32_fp8_fp8 v[104:107], a[116:117], v[16:17], v[104:107]// 00000000C244: D3F30068 0DA22174
	v_mfma_f32_16x16x32_fp8_fp8 v[100:103], a[102:103], v[18:19], v[100:103]// 00000000C24C: D3F30064 0D922566
	buffer_load_dwordx4 a[132:135], v237, s[16:19], 0 offen    // 00000000C254: E05C1000 808484ED
	v_mfma_f32_16x16x32_fp8_fp8 v[104:107], a[118:119], v[18:19], v[104:107]// 00000000C25C: D3F30068 0DA22576
	s_waitcnt lgkmcnt(7)                                       // 00000000C264: BF8CC77F
	v_mfma_f32_16x16x32_fp8_fp8 v[108:111], a[88:89], v[20:21], 0// 00000000C268: D3F3006C 0A022958
	v_mfma_f32_16x16x32_fp8_fp8 v[112:115], a[104:105], v[20:21], 0// 00000000C270: D3F30070 0A022968
	v_mfma_f32_16x16x32_fp8_fp8 v[108:111], a[90:91], v[22:23], v[108:111]// 00000000C278: D3F3006C 0DB22D5A
	buffer_load_dwordx4 a[136:139], v234, s[16:19], 0 offen offset:1024// 00000000C280: E05C1400 808488EA
	v_mfma_f32_16x16x32_fp8_fp8 v[112:115], a[106:107], v[22:23], v[112:115]// 00000000C288: D3F30070 0DC22D6A
	s_waitcnt lgkmcnt(6)                                       // 00000000C290: BF8CC67F
	v_mfma_f32_16x16x32_fp8_fp8 v[108:111], a[92:93], v[24:25], v[108:111]// 00000000C294: D3F3006C 0DB2315C
	v_mfma_f32_16x16x32_fp8_fp8 v[112:115], a[108:109], v[24:25], v[112:115]// 00000000C29C: D3F30070 0DC2316C
	v_mfma_f32_16x16x32_fp8_fp8 v[108:111], a[94:95], v[26:27], v[108:111]// 00000000C2A4: D3F3006C 0DB2355E
	buffer_load_dwordx4 a[140:143], v235, s[16:19], 0 offen offset:1024// 00000000C2AC: E05C1400 80848CEB
	v_mfma_f32_16x16x32_fp8_fp8 v[112:115], a[110:111], v[26:27], v[112:115]// 00000000C2B4: D3F30070 0DC2356E
	s_waitcnt lgkmcnt(5)                                       // 00000000C2BC: BF8CC57F
	v_mfma_f32_16x16x32_fp8_fp8 v[108:111], a[96:97], v[28:29], v[108:111]// 00000000C2C0: D3F3006C 0DB23960
	v_mfma_f32_16x16x32_fp8_fp8 v[112:115], a[112:113], v[28:29], v[112:115]// 00000000C2C8: D3F30070 0DC23970
	v_mfma_f32_16x16x32_fp8_fp8 v[108:111], a[98:99], v[30:31], v[108:111]// 00000000C2D0: D3F3006C 0DB23D62
	buffer_load_dwordx4 a[144:147], v236, s[16:19], 0 offen offset:1024// 00000000C2D8: E05C1400 808490EC
	v_mfma_f32_16x16x32_fp8_fp8 v[112:115], a[114:115], v[30:31], v[112:115]// 00000000C2E0: D3F30070 0DC23D72
	s_waitcnt lgkmcnt(4)                                       // 00000000C2E8: BF8CC47F
	v_mfma_f32_16x16x32_fp8_fp8 v[108:111], a[100:101], v[32:33], v[108:111]// 00000000C2EC: D3F3006C 0DB24164
	v_mfma_f32_16x16x32_fp8_fp8 v[112:115], a[116:117], v[32:33], v[112:115]// 00000000C2F4: D3F30070 0DC24174
	v_mfma_f32_16x16x32_fp8_fp8 v[108:111], a[102:103], v[34:35], v[108:111]// 00000000C2FC: D3F3006C 0DB24566
	buffer_load_dwordx4 a[148:151], v237, s[16:19], 0 offen offset:1024// 00000000C304: E05C1400 808494ED
	v_mfma_f32_16x16x32_fp8_fp8 v[112:115], a[118:119], v[34:35], v[112:115]// 00000000C30C: D3F30070 0DC24576
	s_waitcnt lgkmcnt(3)                                       // 00000000C314: BF8CC37F
	v_mfma_f32_16x16x32_fp8_fp8 v[116:119], a[88:89], v[36:37], 0// 00000000C318: D3F30074 0A024958
	v_mfma_f32_16x16x32_fp8_fp8 v[120:123], a[104:105], v[36:37], 0// 00000000C320: D3F30078 0A024968
	v_mfma_f32_16x16x32_fp8_fp8 v[116:119], a[90:91], v[38:39], v[116:119]// 00000000C328: D3F30074 0DD24D5A
	v_mfma_f32_16x16x32_fp8_fp8 v[120:123], a[106:107], v[38:39], v[120:123]// 00000000C330: D3F30078 0DE24D6A
	s_waitcnt lgkmcnt(2)                                       // 00000000C338: BF8CC27F
	v_mfma_f32_16x16x32_fp8_fp8 v[116:119], a[92:93], v[40:41], v[116:119]// 00000000C33C: D3F30074 0DD2515C
	v_mfma_f32_16x16x32_fp8_fp8 v[120:123], a[108:109], v[40:41], v[120:123]// 00000000C344: D3F30078 0DE2516C
	v_mfma_f32_16x16x32_fp8_fp8 v[116:119], a[94:95], v[42:43], v[116:119]// 00000000C34C: D3F30074 0DD2555E
	v_mfma_f32_16x16x32_fp8_fp8 v[120:123], a[110:111], v[42:43], v[120:123]// 00000000C354: D3F30078 0DE2556E
	s_waitcnt lgkmcnt(1)                                       // 00000000C35C: BF8CC17F
	v_mfma_f32_16x16x32_fp8_fp8 v[116:119], a[96:97], v[44:45], v[116:119]// 00000000C360: D3F30074 0DD25960
	v_mfma_f32_16x16x32_fp8_fp8 v[120:123], a[112:113], v[44:45], v[120:123]// 00000000C368: D3F30078 0DE25970
	v_mfma_f32_16x16x32_fp8_fp8 v[116:119], a[98:99], v[46:47], v[116:119]// 00000000C370: D3F30074 0DD25D62
	v_mfma_f32_16x16x32_fp8_fp8 v[120:123], a[114:115], v[46:47], v[120:123]// 00000000C378: D3F30078 0DE25D72
	s_waitcnt lgkmcnt(0)                                       // 00000000C380: BF8CC07F
	v_mfma_f32_16x16x32_fp8_fp8 v[116:119], a[100:101], v[48:49], v[116:119]// 00000000C384: D3F30074 0DD26164
	v_mfma_f32_16x16x32_fp8_fp8 v[120:123], a[116:117], v[48:49], v[120:123]// 00000000C38C: D3F30078 0DE26174
	v_mfma_f32_16x16x32_fp8_fp8 v[116:119], a[102:103], v[50:51], v[116:119]// 00000000C394: D3F30074 0DD26566
	v_mfma_f32_16x16x32_fp8_fp8 v[120:123], a[118:119], v[50:51], v[120:123]// 00000000C39C: D3F30078 0DE26576
	s_load_dword s59, s[42:43], s68                            // 00000000C3A4: C0000ED5 00000044
	s_addk_i32 s64, 0x100                                      // 00000000C3AC: B7400100

000000000000c3b0 <label_276C>:
	s_cmp_lt_i32 s64, s62                                      // 00000000C3B0: BF043E40
	s_cbranch_scc0 label_3B92                                  // 00000000C3B4: BF841424
	s_waitcnt vmcnt(10)                                        // 00000000C3B8: BF8C0F7A
	v_mfma_f32_16x16x32_fp8_fp8 v[4:7], a[56:57], a[0:1], 0    // 00000000C3BC: D3F30004 1A020138
	s_add_u32 s12, s86, s69                                    // 00000000C3C4: 800C4556
	s_addc_u32 s13, s87, 0                                     // 00000000C3C8: 820D8057
	v_mfma_f32_16x16x32_fp8_fp8 v[4:7], a[58:59], a[2:3], v[4:7]// 00000000C3CC: D3F30004 1C12053A
	s_add_u32 s16, s88, s70                                    // 00000000C3D4: 80104658
	s_addc_u32 s17, s89, 0                                     // 00000000C3D8: 82118059
	v_mfma_f32_16x16x32_fp8_fp8 v[4:7], a[60:61], a[4:5], v[4:7]// 00000000C3DC: D3F30004 1C12093C
	buffer_load_dwordx4 a[24:27], v232, s[12:15], 0 offen      // 00000000C3E4: E05C1000 808318E8
	v_mfma_f32_16x16x32_fp8_fp8 v[4:7], a[62:63], a[6:7], v[4:7]// 00000000C3EC: D3F30004 1C120D3E
	s_add_u32 s20, s90, s71                                    // 00000000C3F4: 8014475A
	s_addc_u32 s21, s91, 0                                     // 00000000C3F8: 8215805B
	v_mfma_f32_16x16x32_fp8_fp8 v[8:11], a[64:65], a[0:1], 0   // 00000000C3FC: D3F30008 1A020140
	s_add_u32 s24, s92, s71                                    // 00000000C404: 8018475C
	s_addc_u32 s25, s93, 0                                     // 00000000C408: 8219805D
	v_mfma_f32_16x16x32_fp8_fp8 v[8:11], a[66:67], a[2:3], v[8:11]// 00000000C40C: D3F30008 1C220542
	s_add_u32 s69, s69, 0x1000                                 // 00000000C414: 8045FF45 00001000
	s_add_u32 s70, s70, 0x8000                                 // 00000000C41C: 8046FF46 00008000
	v_mfma_f32_16x16x32_fp8_fp8 v[8:11], a[68:69], a[4:5], v[8:11]// 00000000C424: D3F30008 1C220944
	buffer_load_dwordx4 a[28:31], v233, s[12:15], 0 offen      // 00000000C42C: E05C1000 80831CE9
	v_mfma_f32_16x16x32_fp8_fp8 v[8:11], a[70:71], a[6:7], v[8:11]// 00000000C434: D3F30008 1C220D46
	v_mfma_f32_16x16x32_fp8_fp8 v[12:15], a[72:73], a[0:1], 0  // 00000000C43C: D3F3000C 1A020148
	v_mfma_f32_16x16x32_fp8_fp8 v[12:15], a[74:75], a[2:3], v[12:15]// 00000000C444: D3F3000C 1C32054A
	v_mfma_f32_16x16x32_fp8_fp8 v[12:15], a[76:77], a[4:5], v[12:15]// 00000000C44C: D3F3000C 1C32094C
	buffer_load_dwordx4 a[32:35], v232, s[12:15], 0 offen offset:1024// 00000000C454: E05C1400 808320E8
	v_mfma_f32_16x16x32_fp8_fp8 v[12:15], a[78:79], a[6:7], v[12:15]// 00000000C45C: D3F3000C 1C320D4E
	v_mfma_f32_16x16x32_fp8_fp8 v[16:19], a[80:81], a[0:1], 0  // 00000000C464: D3F30010 1A020150
	v_mfma_f32_16x16x32_fp8_fp8 v[16:19], a[82:83], a[2:3], v[16:19]// 00000000C46C: D3F30010 1C420552
	v_mfma_f32_16x16x32_fp8_fp8 v[16:19], a[84:85], a[4:5], v[16:19]// 00000000C474: D3F30010 1C420954
	buffer_load_dwordx4 a[36:39], v233, s[12:15], 0 offen offset:1024// 00000000C47C: E05C1400 808324E9
	v_mfma_f32_16x16x32_fp8_fp8 v[16:19], a[86:87], a[6:7], v[16:19]// 00000000C484: D3F30010 1C420D56
	v_mfma_f32_16x16x32_fp8_fp8 v[20:23], a[56:57], a[8:9], 0  // 00000000C48C: D3F30014 1A021138
	v_mfma_f32_16x16x32_fp8_fp8 v[20:23], a[58:59], a[10:11], v[20:23]// 00000000C494: D3F30014 1C52153A
	v_mfma_f32_16x16x32_fp8_fp8 v[20:23], a[60:61], a[12:13], v[20:23]// 00000000C49C: D3F30014 1C52193C
	buffer_load_dwordx4 a[40:43], v232, s[12:15], 0 offen offset:2048// 00000000C4A4: E05C1800 808328E8
	v_mfma_f32_16x16x32_fp8_fp8 v[20:23], a[62:63], a[14:15], v[20:23]// 00000000C4AC: D3F30014 1C521D3E
	v_mfma_f32_16x16x32_fp8_fp8 v[24:27], a[64:65], a[8:9], 0  // 00000000C4B4: D3F30018 1A021140
	v_mfma_f32_16x16x32_fp8_fp8 v[24:27], a[66:67], a[10:11], v[24:27]// 00000000C4BC: D3F30018 1C621542
	v_mfma_f32_16x16x32_fp8_fp8 v[24:27], a[68:69], a[12:13], v[24:27]// 00000000C4C4: D3F30018 1C621944
	buffer_load_dwordx4 a[44:47], v233, s[12:15], 0 offen offset:2048// 00000000C4CC: E05C1800 80832CE9
	v_mfma_f32_16x16x32_fp8_fp8 v[24:27], a[70:71], a[14:15], v[24:27]// 00000000C4D4: D3F30018 1C621D46
	v_mfma_f32_16x16x32_fp8_fp8 v[28:31], a[72:73], a[8:9], 0  // 00000000C4DC: D3F3001C 1A021148
	v_mfma_f32_16x16x32_fp8_fp8 v[28:31], a[74:75], a[10:11], v[28:31]// 00000000C4E4: D3F3001C 1C72154A
	v_mfma_f32_16x16x32_fp8_fp8 v[28:31], a[76:77], a[12:13], v[28:31]// 00000000C4EC: D3F3001C 1C72194C
	buffer_load_dwordx4 a[48:51], v232, s[12:15], 0 offen offset:3072// 00000000C4F4: E05C1C00 808330E8
	v_mfma_f32_16x16x32_fp8_fp8 v[28:31], a[78:79], a[14:15], v[28:31]// 00000000C4FC: D3F3001C 1C721D4E
	v_mfma_f32_16x16x32_fp8_fp8 v[32:35], a[80:81], a[8:9], 0  // 00000000C504: D3F30020 1A021150
	v_mfma_f32_16x16x32_fp8_fp8 v[32:35], a[82:83], a[10:11], v[32:35]// 00000000C50C: D3F30020 1C821552
	v_mfma_f32_16x16x32_fp8_fp8 v[32:35], a[84:85], a[12:13], v[32:35]// 00000000C514: D3F30020 1C821954
	buffer_load_dwordx4 a[52:55], v233, s[12:15], 0 offen offset:3072// 00000000C51C: E05C1C00 808334E9
	v_mfma_f32_16x16x32_fp8_fp8 v[32:35], a[86:87], a[14:15], v[32:35]// 00000000C524: D3F30020 1C821D56
	v_mfma_f32_16x16x32_fp8_fp8 v[36:39], a[56:57], a[16:17], 0// 00000000C52C: D3F30024 1A022138
	v_mfma_f32_16x16x32_fp8_fp8 v[36:39], a[58:59], a[18:19], v[36:39]// 00000000C534: D3F30024 1C92253A
	v_mfma_f32_16x16x32_fp8_fp8 v[36:39], a[60:61], a[20:21], v[36:39]// 00000000C53C: D3F30024 1C92293C
	v_mfma_f32_16x16x32_fp8_fp8 v[36:39], a[62:63], a[22:23], v[36:39]// 00000000C544: D3F30024 1C922D3E
	v_mfma_f32_16x16x32_fp8_fp8 v[40:43], a[64:65], a[16:17], 0// 00000000C54C: D3F30028 1A022140
	v_mfma_f32_16x16x32_fp8_fp8 v[40:43], a[66:67], a[18:19], v[40:43]// 00000000C554: D3F30028 1CA22542
	v_mfma_f32_16x16x32_fp8_fp8 v[40:43], a[68:69], a[20:21], v[40:43]// 00000000C55C: D3F30028 1CA22944
	v_mfma_f32_16x16x32_fp8_fp8 v[40:43], a[70:71], a[22:23], v[40:43]// 00000000C564: D3F30028 1CA22D46
	v_mfma_f32_16x16x32_fp8_fp8 v[44:47], a[72:73], a[16:17], 0// 00000000C56C: D3F3002C 1A022148
	v_mfma_f32_16x16x32_fp8_fp8 v[44:47], a[74:75], a[18:19], v[44:47]// 00000000C574: D3F3002C 1CB2254A
	v_mfma_f32_16x16x32_fp8_fp8 v[44:47], a[76:77], a[20:21], v[44:47]// 00000000C57C: D3F3002C 1CB2294C
	v_mfma_f32_16x16x32_fp8_fp8 v[44:47], a[78:79], a[22:23], v[44:47]// 00000000C584: D3F3002C 1CB22D4E
	v_mfma_f32_16x16x32_fp8_fp8 v[48:51], a[80:81], a[16:17], 0// 00000000C58C: D3F30030 1A022150
	v_mfma_f32_16x16x32_fp8_fp8 v[48:51], a[82:83], a[18:19], v[48:51]// 00000000C594: D3F30030 1CC22552
	v_mfma_f32_16x16x32_fp8_fp8 v[48:51], a[84:85], a[20:21], v[48:51]// 00000000C59C: D3F30030 1CC22954
	v_mfma_f32_16x16x32_fp8_fp8 v[48:51], a[86:87], a[22:23], v[48:51]// 00000000C5A4: D3F30030 1CC22D56
	s_waitcnt vmcnt(16)                                        // 00000000C5AC: BF8C4F70
	v_or_b32_dpp v36, v44, v36 row_shr:8 row_mask:0xf bank_mask:0xf bound_ctrl:1// 00000000C5B0: 284848FA FF09182C
	v_or_b32_dpp v37, v45, v37 row_shr:8 row_mask:0xf bank_mask:0xf bound_ctrl:1// 00000000C5B8: 284A4AFA FF09182D
	v_or_b32_dpp v38, v46, v38 row_shr:8 row_mask:0xf bank_mask:0xf bound_ctrl:1// 00000000C5C0: 284C4CFA FF09182E
	v_or_b32_dpp v39, v47, v39 row_shr:8 row_mask:0xf bank_mask:0xf bound_ctrl:1// 00000000C5C8: 284E4EFA FF09182F
	v_or_b32_dpp v40, v48, v40 row_shr:8 row_mask:0xf bank_mask:0xf bound_ctrl:1// 00000000C5D0: 285050FA FF091830
	v_or_b32_dpp v41, v49, v41 row_shr:8 row_mask:0xf bank_mask:0xf bound_ctrl:1// 00000000C5D8: 285252FA FF091831
	v_or_b32_dpp v42, v50, v42 row_shr:8 row_mask:0xf bank_mask:0xf bound_ctrl:1// 00000000C5E0: 285454FA FF091832
	v_or_b32_dpp v43, v51, v43 row_shr:8 row_mask:0xf bank_mask:0xf bound_ctrl:1// 00000000C5E8: 285656FA FF091833
	v_pk_mul_f32 v[4:5], v[148:149], v[4:5]                    // 00000000C5F0: D3B14004 18020994
	v_pk_mul_f32 v[6:7], v[148:149], v[6:7]                    // 00000000C5F8: D3B14006 18020D94
	v_pk_mul_f32 v[8:9], v[148:149], v[8:9]                    // 00000000C600: D3B14008 18021194
	v_pk_mul_f32 v[10:11], v[148:149], v[10:11]                // 00000000C608: D3B1400A 18021594
	v_pk_mul_f32 v[12:13], v[148:149], v[12:13]                // 00000000C610: D3B1400C 18021994
	v_pk_mul_f32 v[14:15], v[148:149], v[14:15]                // 00000000C618: D3B1400E 18021D94
	v_pk_mul_f32 v[16:17], v[148:149], v[16:17]                // 00000000C620: D3B14010 18022194
	v_pk_mul_f32 v[18:19], v[148:149], v[18:19]                // 00000000C628: D3B14012 18022594
	v_mul_f32_e32 v4, v155, v4                                 // 00000000C630: 0A08099B
	v_mul_f32_e32 v5, v155, v5                                 // 00000000C634: 0A0A0B9B
	v_mul_f32_e32 v6, v155, v6                                 // 00000000C638: 0A0C0D9B
	v_mul_f32_e32 v7, v155, v7                                 // 00000000C63C: 0A0E0F9B
	v_mul_f32_e32 v8, v155, v8                                 // 00000000C640: 0A10119B
	v_mul_f32_e32 v9, v155, v9                                 // 00000000C644: 0A12139B
	v_mul_f32_e32 v10, v155, v10                               // 00000000C648: 0A14159B
	v_mul_f32_e32 v11, v155, v11                               // 00000000C64C: 0A16179B
	v_mul_f32_e32 v12, v155, v12                               // 00000000C650: 0A18199B
	v_mul_f32_e32 v13, v155, v13                               // 00000000C654: 0A1A1B9B
	v_mul_f32_e32 v14, v155, v14                               // 00000000C658: 0A1C1D9B
	v_mul_f32_e32 v15, v155, v15                               // 00000000C65C: 0A1E1F9B
	v_mul_f32_e32 v16, v155, v16                               // 00000000C660: 0A20219B
	v_mul_f32_e32 v17, v155, v17                               // 00000000C664: 0A22239B
	v_mul_f32_e32 v18, v155, v18                               // 00000000C668: 0A24259B
	v_mul_f32_e32 v19, v155, v19                               // 00000000C66C: 0A26279B
	v_pk_mul_f32 v[20:21], v[150:151], v[20:21]                // 00000000C670: D3B14014 18022996
	v_pk_mul_f32 v[22:23], v[150:151], v[22:23]                // 00000000C678: D3B14016 18022D96
	v_pk_mul_f32 v[24:25], v[150:151], v[24:25]                // 00000000C680: D3B14018 18023196
	v_pk_mul_f32 v[26:27], v[150:151], v[26:27]                // 00000000C688: D3B1401A 18023596
	v_pk_mul_f32 v[28:29], v[150:151], v[28:29]                // 00000000C690: D3B1401C 18023996
	v_pk_mul_f32 v[30:31], v[150:151], v[30:31]                // 00000000C698: D3B1401E 18023D96
	v_pk_mul_f32 v[32:33], v[150:151], v[32:33]                // 00000000C6A0: D3B14020 18024196
	v_pk_mul_f32 v[34:35], v[150:151], v[34:35]                // 00000000C6A8: D3B14022 18024596
	v_mul_f32_e32 v20, v155, v20                               // 00000000C6B0: 0A28299B
	v_mul_f32_e32 v21, v155, v21                               // 00000000C6B4: 0A2A2B9B
	v_mul_f32_e32 v22, v155, v22                               // 00000000C6B8: 0A2C2D9B
	v_mul_f32_e32 v23, v155, v23                               // 00000000C6BC: 0A2E2F9B
	v_mul_f32_e32 v24, v155, v24                               // 00000000C6C0: 0A30319B
	v_mul_f32_e32 v25, v155, v25                               // 00000000C6C4: 0A32339B
	v_mul_f32_e32 v26, v155, v26                               // 00000000C6C8: 0A34359B
	v_mul_f32_e32 v27, v155, v27                               // 00000000C6CC: 0A36379B
	v_mul_f32_e32 v28, v155, v28                               // 00000000C6D0: 0A38399B
	v_mul_f32_e32 v29, v155, v29                               // 00000000C6D4: 0A3A3B9B
	v_mul_f32_e32 v30, v155, v30                               // 00000000C6D8: 0A3C3D9B
	v_mul_f32_e32 v31, v155, v31                               // 00000000C6DC: 0A3E3F9B
	v_mul_f32_e32 v32, v155, v32                               // 00000000C6E0: 0A40419B
	v_mul_f32_e32 v33, v155, v33                               // 00000000C6E4: 0A42439B
	v_mul_f32_e32 v34, v155, v34                               // 00000000C6E8: 0A44459B
	v_mul_f32_e32 v35, v155, v35                               // 00000000C6EC: 0A46479B
	v_pk_mul_f32 v[36:37], v[152:153], v[36:37]                // 00000000C6F0: D3B14024 18024998
	v_pk_mul_f32 v[38:39], v[152:153], v[38:39]                // 00000000C6F8: D3B14026 18024D98
	v_pk_mul_f32 v[40:41], v[152:153], v[40:41]                // 00000000C700: D3B14028 18025198
	v_pk_mul_f32 v[42:43], v[152:153], v[42:43]                // 00000000C708: D3B1402A 18025598
	v_mul_f32_e32 v36, v155, v36                               // 00000000C710: 0A48499B
	v_mul_f32_e32 v37, v155, v37                               // 00000000C714: 0A4A4B9B
	v_mul_f32_e32 v38, v155, v38                               // 00000000C718: 0A4C4D9B
	v_mul_f32_e32 v39, v155, v39                               // 00000000C71C: 0A4E4F9B
	v_mul_f32_e32 v40, v155, v40                               // 00000000C720: 0A50519B
	v_mul_f32_e32 v41, v155, v41                               // 00000000C724: 0A52539B
	v_mul_f32_e32 v42, v155, v42                               // 00000000C728: 0A54559B
	v_mul_f32_e32 v43, v155, v43                               // 00000000C72C: 0A56579B
	v_add_u32_e32 v168, s64, v222                              // 00000000C730: 6951BC40
	v_add_u32_e32 v169, 0, v168                                // 00000000C734: 69535080
	v_cmp_lt_u32_e64 s[98:99], v169, v219                      // 00000000C738: D0C90062 0003B7A9
	s_nop 0                                                    // 00000000C740: BF800000
	v_cndmask_b32_e64 v4, v225, v4, s[98:99]                   // 00000000C744: D1000004 018A09E1
	v_add_u32_e32 v169, 1, v168                                // 00000000C74C: 69535081
	v_cmp_lt_u32_e64 s[98:99], v169, v219                      // 00000000C750: D0C90062 0003B7A9
	s_nop 0                                                    // 00000000C758: BF800000
	v_cndmask_b32_e64 v5, v225, v5, s[98:99]                   // 00000000C75C: D1000005 018A0BE1
	v_add_u32_e32 v169, 2, v168                                // 00000000C764: 69535082
	v_cmp_lt_u32_e64 s[98:99], v169, v219                      // 00000000C768: D0C90062 0003B7A9
	s_nop 0                                                    // 00000000C770: BF800000
	v_cndmask_b32_e64 v6, v225, v6, s[98:99]                   // 00000000C774: D1000006 018A0DE1
	v_add_u32_e32 v169, 3, v168                                // 00000000C77C: 69535083
	v_cmp_lt_u32_e64 s[98:99], v169, v219                      // 00000000C780: D0C90062 0003B7A9
	s_nop 0                                                    // 00000000C788: BF800000
	v_cndmask_b32_e64 v7, v225, v7, s[98:99]                   // 00000000C78C: D1000007 018A0FE1
	v_add_u32_e32 v169, 64, v168                               // 00000000C794: 695350C0
	v_cmp_lt_u32_e64 s[98:99], v169, v219                      // 00000000C798: D0C90062 0003B7A9
	s_nop 0                                                    // 00000000C7A0: BF800000
	v_cndmask_b32_e64 v8, v225, v8, s[98:99]                   // 00000000C7A4: D1000008 018A11E1
	v_add_u32_e32 v169, 0x41, v168                             // 00000000C7AC: 695350FF 00000041
	v_cmp_lt_u32_e64 s[98:99], v169, v219                      // 00000000C7B4: D0C90062 0003B7A9
	s_nop 0                                                    // 00000000C7BC: BF800000
	v_cndmask_b32_e64 v9, v225, v9, s[98:99]                   // 00000000C7C0: D1000009 018A13E1
	v_add_u32_e32 v169, 0x42, v168                             // 00000000C7C8: 695350FF 00000042
	v_cmp_lt_u32_e64 s[98:99], v169, v219                      // 00000000C7D0: D0C90062 0003B7A9
	s_nop 0                                                    // 00000000C7D8: BF800000
	v_cndmask_b32_e64 v10, v225, v10, s[98:99]                 // 00000000C7DC: D100000A 018A15E1
	v_add_u32_e32 v169, 0x43, v168                             // 00000000C7E4: 695350FF 00000043
	v_cmp_lt_u32_e64 s[98:99], v169, v219                      // 00000000C7EC: D0C90062 0003B7A9
	s_nop 0                                                    // 00000000C7F4: BF800000
	v_cndmask_b32_e64 v11, v225, v11, s[98:99]                 // 00000000C7F8: D100000B 018A17E1
	v_add_u32_e32 v169, 0x80, v168                             // 00000000C800: 695350FF 00000080
	v_cmp_lt_u32_e64 s[98:99], v169, v219                      // 00000000C808: D0C90062 0003B7A9
	s_nop 0                                                    // 00000000C810: BF800000
	v_cndmask_b32_e64 v12, v225, v12, s[98:99]                 // 00000000C814: D100000C 018A19E1
	v_add_u32_e32 v169, 0x81, v168                             // 00000000C81C: 695350FF 00000081
	v_cmp_lt_u32_e64 s[98:99], v169, v219                      // 00000000C824: D0C90062 0003B7A9
	s_nop 0                                                    // 00000000C82C: BF800000
	v_cndmask_b32_e64 v13, v225, v13, s[98:99]                 // 00000000C830: D100000D 018A1BE1
	v_add_u32_e32 v169, 0x82, v168                             // 00000000C838: 695350FF 00000082
	v_cmp_lt_u32_e64 s[98:99], v169, v219                      // 00000000C840: D0C90062 0003B7A9
	s_nop 0                                                    // 00000000C848: BF800000
	v_cndmask_b32_e64 v14, v225, v14, s[98:99]                 // 00000000C84C: D100000E 018A1DE1
	v_add_u32_e32 v169, 0x83, v168                             // 00000000C854: 695350FF 00000083
	v_cmp_lt_u32_e64 s[98:99], v169, v219                      // 00000000C85C: D0C90062 0003B7A9
	s_nop 0                                                    // 00000000C864: BF800000
	v_cndmask_b32_e64 v15, v225, v15, s[98:99]                 // 00000000C868: D100000F 018A1FE1
	v_add_u32_e32 v169, 0xc0, v168                             // 00000000C870: 695350FF 000000C0
	v_cmp_lt_u32_e64 s[98:99], v169, v219                      // 00000000C878: D0C90062 0003B7A9
	s_nop 0                                                    // 00000000C880: BF800000
	v_cndmask_b32_e64 v16, v225, v16, s[98:99]                 // 00000000C884: D1000010 018A21E1
	v_add_u32_e32 v169, 0xc1, v168                             // 00000000C88C: 695350FF 000000C1
	v_cmp_lt_u32_e64 s[98:99], v169, v219                      // 00000000C894: D0C90062 0003B7A9
	s_nop 0                                                    // 00000000C89C: BF800000
	v_cndmask_b32_e64 v17, v225, v17, s[98:99]                 // 00000000C8A0: D1000011 018A23E1
	v_add_u32_e32 v169, 0xc2, v168                             // 00000000C8A8: 695350FF 000000C2
	v_cmp_lt_u32_e64 s[98:99], v169, v219                      // 00000000C8B0: D0C90062 0003B7A9
	s_nop 0                                                    // 00000000C8B8: BF800000
	v_cndmask_b32_e64 v18, v225, v18, s[98:99]                 // 00000000C8BC: D1000012 018A25E1
	v_add_u32_e32 v169, 0xc3, v168                             // 00000000C8C4: 695350FF 000000C3
	v_cmp_lt_u32_e64 s[98:99], v169, v219                      // 00000000C8CC: D0C90062 0003B7A9
	s_nop 0                                                    // 00000000C8D4: BF800000
	v_cndmask_b32_e64 v19, v225, v19, s[98:99]                 // 00000000C8D8: D1000013 018A27E1
	v_add_u32_e32 v169, 0, v168                                // 00000000C8E0: 69535080
	v_cmp_lt_u32_e64 s[98:99], v169, v220                      // 00000000C8E4: D0C90062 0003B9A9
	s_nop 0                                                    // 00000000C8EC: BF800000
	v_cndmask_b32_e64 v20, v225, v20, s[98:99]                 // 00000000C8F0: D1000014 018A29E1
	v_add_u32_e32 v169, 1, v168                                // 00000000C8F8: 69535081
	v_cmp_lt_u32_e64 s[98:99], v169, v220                      // 00000000C8FC: D0C90062 0003B9A9
	s_nop 0                                                    // 00000000C904: BF800000
	v_cndmask_b32_e64 v21, v225, v21, s[98:99]                 // 00000000C908: D1000015 018A2BE1
	v_add_u32_e32 v169, 2, v168                                // 00000000C910: 69535082
	v_cmp_lt_u32_e64 s[98:99], v169, v220                      // 00000000C914: D0C90062 0003B9A9
	s_nop 0                                                    // 00000000C91C: BF800000
	v_cndmask_b32_e64 v22, v225, v22, s[98:99]                 // 00000000C920: D1000016 018A2DE1
	v_add_u32_e32 v169, 3, v168                                // 00000000C928: 69535083
	v_cmp_lt_u32_e64 s[98:99], v169, v220                      // 00000000C92C: D0C90062 0003B9A9
	s_nop 0                                                    // 00000000C934: BF800000
	v_cndmask_b32_e64 v23, v225, v23, s[98:99]                 // 00000000C938: D1000017 018A2FE1
	v_add_u32_e32 v169, 64, v168                               // 00000000C940: 695350C0
	v_cmp_lt_u32_e64 s[98:99], v169, v220                      // 00000000C944: D0C90062 0003B9A9
	s_nop 0                                                    // 00000000C94C: BF800000
	v_cndmask_b32_e64 v24, v225, v24, s[98:99]                 // 00000000C950: D1000018 018A31E1
	v_add_u32_e32 v169, 0x41, v168                             // 00000000C958: 695350FF 00000041
	v_cmp_lt_u32_e64 s[98:99], v169, v220                      // 00000000C960: D0C90062 0003B9A9
	s_nop 0                                                    // 00000000C968: BF800000
	v_cndmask_b32_e64 v25, v225, v25, s[98:99]                 // 00000000C96C: D1000019 018A33E1
	v_add_u32_e32 v169, 0x42, v168                             // 00000000C974: 695350FF 00000042
	v_cmp_lt_u32_e64 s[98:99], v169, v220                      // 00000000C97C: D0C90062 0003B9A9
	s_nop 0                                                    // 00000000C984: BF800000
	v_cndmask_b32_e64 v26, v225, v26, s[98:99]                 // 00000000C988: D100001A 018A35E1
	v_add_u32_e32 v169, 0x43, v168                             // 00000000C990: 695350FF 00000043
	v_cmp_lt_u32_e64 s[98:99], v169, v220                      // 00000000C998: D0C90062 0003B9A9
	s_nop 0                                                    // 00000000C9A0: BF800000
	v_cndmask_b32_e64 v27, v225, v27, s[98:99]                 // 00000000C9A4: D100001B 018A37E1
	v_add_u32_e32 v169, 0x80, v168                             // 00000000C9AC: 695350FF 00000080
	v_cmp_lt_u32_e64 s[98:99], v169, v220                      // 00000000C9B4: D0C90062 0003B9A9
	s_nop 0                                                    // 00000000C9BC: BF800000
	v_cndmask_b32_e64 v28, v225, v28, s[98:99]                 // 00000000C9C0: D100001C 018A39E1
	v_add_u32_e32 v169, 0x81, v168                             // 00000000C9C8: 695350FF 00000081
	v_cmp_lt_u32_e64 s[98:99], v169, v220                      // 00000000C9D0: D0C90062 0003B9A9
	s_nop 0                                                    // 00000000C9D8: BF800000
	v_cndmask_b32_e64 v29, v225, v29, s[98:99]                 // 00000000C9DC: D100001D 018A3BE1
	v_add_u32_e32 v169, 0x82, v168                             // 00000000C9E4: 695350FF 00000082
	v_cmp_lt_u32_e64 s[98:99], v169, v220                      // 00000000C9EC: D0C90062 0003B9A9
	s_nop 0                                                    // 00000000C9F4: BF800000
	v_cndmask_b32_e64 v30, v225, v30, s[98:99]                 // 00000000C9F8: D100001E 018A3DE1
	v_add_u32_e32 v169, 0x83, v168                             // 00000000CA00: 695350FF 00000083
	v_cmp_lt_u32_e64 s[98:99], v169, v220                      // 00000000CA08: D0C90062 0003B9A9
	s_nop 0                                                    // 00000000CA10: BF800000
	v_cndmask_b32_e64 v31, v225, v31, s[98:99]                 // 00000000CA14: D100001F 018A3FE1
	v_add_u32_e32 v169, 0xc0, v168                             // 00000000CA1C: 695350FF 000000C0
	v_cmp_lt_u32_e64 s[98:99], v169, v220                      // 00000000CA24: D0C90062 0003B9A9
	s_nop 0                                                    // 00000000CA2C: BF800000
	v_cndmask_b32_e64 v32, v225, v32, s[98:99]                 // 00000000CA30: D1000020 018A41E1
	v_add_u32_e32 v169, 0xc1, v168                             // 00000000CA38: 695350FF 000000C1
	v_cmp_lt_u32_e64 s[98:99], v169, v220                      // 00000000CA40: D0C90062 0003B9A9
	s_nop 0                                                    // 00000000CA48: BF800000
	v_cndmask_b32_e64 v33, v225, v33, s[98:99]                 // 00000000CA4C: D1000021 018A43E1
	v_add_u32_e32 v169, 0xc2, v168                             // 00000000CA54: 695350FF 000000C2
	v_cmp_lt_u32_e64 s[98:99], v169, v220                      // 00000000CA5C: D0C90062 0003B9A9
	s_nop 0                                                    // 00000000CA64: BF800000
	v_cndmask_b32_e64 v34, v225, v34, s[98:99]                 // 00000000CA68: D1000022 018A45E1
	v_add_u32_e32 v169, 0xc3, v168                             // 00000000CA70: 695350FF 000000C3
	v_cmp_lt_u32_e64 s[98:99], v169, v220                      // 00000000CA78: D0C90062 0003B9A9
	s_nop 0                                                    // 00000000CA80: BF800000
	v_cndmask_b32_e64 v35, v225, v35, s[98:99]                 // 00000000CA84: D1000023 018A47E1
	v_add_u32_e32 v168, s64, v223                              // 00000000CA8C: 6951BE40
	v_add_u32_e32 v169, 0, v168                                // 00000000CA90: 69535080
	v_cmp_lt_u32_e64 s[98:99], v169, v221                      // 00000000CA94: D0C90062 0003BBA9
	s_nop 0                                                    // 00000000CA9C: BF800000
	v_cndmask_b32_e64 v36, v225, v36, s[98:99]                 // 00000000CAA0: D1000024 018A49E1
	v_add_u32_e32 v169, 1, v168                                // 00000000CAA8: 69535081
	v_cmp_lt_u32_e64 s[98:99], v169, v221                      // 00000000CAAC: D0C90062 0003BBA9
	s_nop 0                                                    // 00000000CAB4: BF800000
	v_cndmask_b32_e64 v37, v225, v37, s[98:99]                 // 00000000CAB8: D1000025 018A4BE1
	v_add_u32_e32 v169, 2, v168                                // 00000000CAC0: 69535082
	v_cmp_lt_u32_e64 s[98:99], v169, v221                      // 00000000CAC4: D0C90062 0003BBA9
	s_nop 0                                                    // 00000000CACC: BF800000
	v_cndmask_b32_e64 v38, v225, v38, s[98:99]                 // 00000000CAD0: D1000026 018A4DE1
	v_add_u32_e32 v169, 3, v168                                // 00000000CAD8: 69535083
	v_cmp_lt_u32_e64 s[98:99], v169, v221                      // 00000000CADC: D0C90062 0003BBA9
	s_nop 0                                                    // 00000000CAE4: BF800000
	v_cndmask_b32_e64 v39, v225, v39, s[98:99]                 // 00000000CAE8: D1000027 018A4FE1
	v_add_u32_e32 v169, 64, v168                               // 00000000CAF0: 695350C0
	v_cmp_lt_u32_e64 s[98:99], v169, v221                      // 00000000CAF4: D0C90062 0003BBA9
	s_nop 0                                                    // 00000000CAFC: BF800000
	v_cndmask_b32_e64 v40, v225, v40, s[98:99]                 // 00000000CB00: D1000028 018A51E1
	v_add_u32_e32 v169, 0x41, v168                             // 00000000CB08: 695350FF 00000041
	v_cmp_lt_u32_e64 s[98:99], v169, v221                      // 00000000CB10: D0C90062 0003BBA9
	s_nop 0                                                    // 00000000CB18: BF800000
	v_cndmask_b32_e64 v41, v225, v41, s[98:99]                 // 00000000CB1C: D1000029 018A53E1
	v_add_u32_e32 v169, 0x42, v168                             // 00000000CB24: 695350FF 00000042
	v_cmp_lt_u32_e64 s[98:99], v169, v221                      // 00000000CB2C: D0C90062 0003BBA9
	s_nop 0                                                    // 00000000CB34: BF800000
	v_cndmask_b32_e64 v42, v225, v42, s[98:99]                 // 00000000CB38: D100002A 018A55E1
	v_add_u32_e32 v169, 0x43, v168                             // 00000000CB40: 695350FF 00000043
	v_cmp_lt_u32_e64 s[98:99], v169, v221                      // 00000000CB48: D0C90062 0003BBA9
	s_nop 0                                                    // 00000000CB50: BF800000
	v_cndmask_b32_e64 v43, v225, v43, s[98:99]                 // 00000000CB54: D100002B 018A57E1
	v_mov_b32_e32 v190, v36                                    // 00000000CB5C: 7F7C0324
	v_max3_f32 v190, v36, v37, v190                            // 00000000CB60: D1D300BE 06FA4B24
	v_max3_f32 v190, v38, v39, v190                            // 00000000CB68: D1D300BE 06FA4F26
	v_max3_f32 v190, v40, v41, v190                            // 00000000CB70: D1D300BE 06FA5328
	v_max3_f32 v190, v42, v43, v190                            // 00000000CB78: D1D300BE 06FA572A
	v_mov_b32_e32 v189, v20                                    // 00000000CB80: 7F7A0314
	v_max3_f32 v189, v20, v21, v189                            // 00000000CB84: D1D300BD 06F62B14
	v_max3_f32 v189, v22, v23, v189                            // 00000000CB8C: D1D300BD 06F62F16
	v_max3_f32 v189, v24, v25, v189                            // 00000000CB94: D1D300BD 06F63318
	v_max3_f32 v189, v26, v27, v189                            // 00000000CB9C: D1D300BD 06F6371A
	v_max3_f32 v189, v28, v29, v189                            // 00000000CBA4: D1D300BD 06F63B1C
	v_max3_f32 v189, v30, v31, v189                            // 00000000CBAC: D1D300BD 06F63F1E
	v_max3_f32 v189, v32, v33, v189                            // 00000000CBB4: D1D300BD 06F64320
	v_max3_f32 v189, v34, v35, v189                            // 00000000CBBC: D1D300BD 06F64722
	v_mov_b32_e32 v188, v4                                     // 00000000CBC4: 7F780304
	v_max3_f32 v188, v4, v5, v188                              // 00000000CBC8: D1D300BC 06F20B04
	v_max3_f32 v188, v6, v7, v188                              // 00000000CBD0: D1D300BC 06F20F06
	v_max3_f32 v188, v8, v9, v188                              // 00000000CBD8: D1D300BC 06F21308
	v_max3_f32 v188, v10, v11, v188                            // 00000000CBE0: D1D300BC 06F2170A
	v_max3_f32 v188, v12, v13, v188                            // 00000000CBE8: D1D300BC 06F21B0C
	v_max3_f32 v188, v14, v15, v188                            // 00000000CBF0: D1D300BC 06F21F0E
	v_max3_f32 v188, v16, v17, v188                            // 00000000CBF8: D1D300BC 06F22310
	v_max3_f32 v188, v18, v19, v188                            // 00000000CC00: D1D300BC 06F22712
	v_max_f32_dpp v190, v190, v190 row_ror:8 row_mask:0xf bank_mask:0xf// 00000000CC08: 177D7CFA FF0128BE
	ds_bpermute_b32 v172, v212, v188                           // 00000000CC10: D87E0000 AC00BCD4
	ds_bpermute_b32 v173, v213, v188                           // 00000000CC18: D87E0000 AD00BCD5
	ds_bpermute_b32 v174, v214, v188                           // 00000000CC20: D87E0000 AE00BCD6
	ds_bpermute_b32 v175, v212, v189                           // 00000000CC28: D87E0000 AF00BDD4
	ds_bpermute_b32 v176, v213, v189                           // 00000000CC30: D87E0000 B000BDD5
	ds_bpermute_b32 v177, v214, v189                           // 00000000CC38: D87E0000 B100BDD6
	ds_bpermute_b32 v178, v212, v190                           // 00000000CC40: D87E0000 B200BED4
	ds_bpermute_b32 v179, v213, v190                           // 00000000CC48: D87E0000 B300BED5
	ds_bpermute_b32 v180, v214, v190                           // 00000000CC50: D87E0000 B400BED6
	v_pk_mul_f32 v[124:125], v[200:201], v[124:125]            // 00000000CC58: D3B1407C 1802F9C8
	v_pk_mul_f32 v[126:127], v[200:201], v[126:127]            // 00000000CC60: D3B1407E 1802FDC8
	v_pk_mul_f32 v[128:129], v[200:201], v[128:129]            // 00000000CC68: D3B14080 180301C8
	v_pk_mul_f32 v[130:131], v[200:201], v[130:131]            // 00000000CC70: D3B14082 180305C8
	v_pk_mul_f32 v[132:133], v[202:203], v[132:133]            // 00000000CC78: D3B14084 180309CA
	v_pk_mul_f32 v[134:135], v[202:203], v[134:135]            // 00000000CC80: D3B14086 18030DCA
	v_pk_mul_f32 v[136:137], v[202:203], v[136:137]            // 00000000CC88: D3B14088 180311CA
	v_pk_mul_f32 v[138:139], v[202:203], v[138:139]            // 00000000CC90: D3B1408A 180315CA
	v_pk_mul_f32 v[140:141], v[204:205], v[140:141]            // 00000000CC98: D3B1408C 180319CC
	v_pk_mul_f32 v[142:143], v[204:205], v[142:143]            // 00000000CCA0: D3B1408E 18031DCC
	v_pk_mul_f32 v[144:145], v[204:205], v[144:145]            // 00000000CCA8: D3B14090 180321CC
	v_pk_mul_f32 v[146:147], v[204:205], v[146:147]            // 00000000CCB0: D3B14092 180325CC
	s_waitcnt lgkmcnt(6)                                       // 00000000CCB8: BF8CC67F
	v_max3_f32 v188, v172, v173, v188                          // 00000000CCBC: D1D300BC 06F35BAC
	v_max_f32_e32 v188, v174, v188                             // 00000000CCC4: 177979AE
	s_waitcnt lgkmcnt(3)                                       // 00000000CCC8: BF8CC37F
	v_max3_f32 v189, v175, v176, v189                          // 00000000CCCC: D1D300BD 06F761AF
	v_max_f32_e32 v189, v177, v189                             // 00000000CCD4: 177B7BB1
	s_waitcnt lgkmcnt(0)                                       // 00000000CCD8: BF8CC07F
	v_max3_f32 v190, v178, v179, v190                          // 00000000CCDC: D1D300BE 06FB67B2
	v_max_f32_e32 v190, v180, v190                             // 00000000CCE4: 177D7DB4
	ds_write_b128 v252, v[188:191]                             // 00000000CCE8: D9BE0000 0000BCFC
	s_waitcnt lgkmcnt(0)                                       // 00000000CCF0: BF8CC07F
	s_barrier                                                  // 00000000CCF4: BF8A0000
	ds_read_b128 v[172:175], v253                              // 00000000CCF8: D9FE0000 AC0000FD
	ds_read_b128 v[176:179], v253 offset:256                   // 00000000CD00: D9FE0100 B00000FD
	ds_read_b128 v[180:183], v253 offset:512                   // 00000000CD08: D9FE0200 B40000FD
	ds_read_b128 v[184:187], v253 offset:768                   // 00000000CD10: D9FE0300 B80000FD
	v_pk_mul_f32 v[100:101], v[158:159], v[100:101]            // 00000000CD18: D3B14064 1802C99E
	v_pk_mul_f32 v[102:103], v[158:159], v[102:103]            // 00000000CD20: D3B14066 1802CD9E
	v_pk_mul_f32 v[104:105], v[158:159], v[104:105]            // 00000000CD28: D3B14068 1802D19E
	v_pk_mul_f32 v[106:107], v[158:159], v[106:107]            // 00000000CD30: D3B1406A 1802D59E
	v_pk_mul_f32 v[108:109], v[160:161], v[108:109]            // 00000000CD38: D3B1406C 1802D9A0
	v_pk_mul_f32 v[110:111], v[160:161], v[110:111]            // 00000000CD40: D3B1406E 1802DDA0
	v_pk_mul_f32 v[112:113], v[160:161], v[112:113]            // 00000000CD48: D3B14070 1802E1A0
	v_pk_mul_f32 v[114:115], v[160:161], v[114:115]            // 00000000CD50: D3B14072 1802E5A0
	v_pk_mul_f32 v[116:117], v[162:163], v[116:117]            // 00000000CD58: D3B14074 1802E9A2
	v_pk_mul_f32 v[118:119], v[162:163], v[118:119]            // 00000000CD60: D3B14076 1802EDA2
	v_pk_mul_f32 v[120:121], v[162:163], v[120:121]            // 00000000CD68: D3B14078 1802F1A2
	v_pk_mul_f32 v[122:123], v[162:163], v[122:123]            // 00000000CD70: D3B1407A 1802F5A2
	s_waitcnt lgkmcnt(0)                                       // 00000000CD78: BF8CC07F
	v_max3_f32 v188, v172, v176, v188                          // 00000000CD7C: D1D300BC 06F361AC
	v_max3_f32 v189, v173, v177, v189                          // 00000000CD84: D1D300BD 06F763AD
	v_max3_f32 v190, v174, v178, v190                          // 00000000CD8C: D1D300BE 06FB65AE
	v_max3_f32 v188, v180, v184, v188                          // 00000000CD94: D1D300BC 06F371B4
	v_max3_f32 v189, v181, v185, v189                          // 00000000CD9C: D1D300BD 06F773B5
	v_max3_f32 v190, v182, v186, v190                          // 00000000CDA4: D1D300BE 06FB75B6
	v_max_f32_e32 v197, v188, v194                             // 00000000CDAC: 178B85BC
	v_mul_f32_e64 v168, -s46, v197                             // 00000000CDB0: D10500A8 20038A2E
	v_mov_b32_e32 v169, v168                                   // 00000000CDB8: 7F5203A8
	v_pk_fma_f32 v[4:5], v[4:5], s[46:47], v[168:169]          // 00000000CDBC: D3B04004 1EA05D04
	v_pk_fma_f32 v[6:7], v[6:7], s[46:47], v[168:169]          // 00000000CDC4: D3B04006 1EA05D06
	v_exp_f32_e32 v4, v4                                       // 00000000CDCC: 7E084104
	v_exp_f32_e32 v5, v5                                       // 00000000CDD0: 7E0A4105
	v_exp_f32_e32 v6, v6                                       // 00000000CDD4: 7E0C4106
	v_exp_f32_e32 v7, v7                                       // 00000000CDD8: 7E0E4107
	v_pk_fma_f32 v[8:9], v[8:9], s[46:47], v[168:169]          // 00000000CDDC: D3B04008 1EA05D08
	v_pk_fma_f32 v[10:11], v[10:11], s[46:47], v[168:169]      // 00000000CDE4: D3B0400A 1EA05D0A
	v_exp_f32_e32 v8, v8                                       // 00000000CDEC: 7E104108
	v_exp_f32_e32 v9, v9                                       // 00000000CDF0: 7E124109
	v_exp_f32_e32 v10, v10                                     // 00000000CDF4: 7E14410A
	v_exp_f32_e32 v11, v11                                     // 00000000CDF8: 7E16410B
	v_pk_fma_f32 v[12:13], v[12:13], s[46:47], v[168:169]      // 00000000CDFC: D3B0400C 1EA05D0C
	v_pk_fma_f32 v[14:15], v[14:15], s[46:47], v[168:169]      // 00000000CE04: D3B0400E 1EA05D0E
	v_exp_f32_e32 v12, v12                                     // 00000000CE0C: 7E18410C
	v_exp_f32_e32 v13, v13                                     // 00000000CE10: 7E1A410D
	v_exp_f32_e32 v14, v14                                     // 00000000CE14: 7E1C410E
	v_exp_f32_e32 v15, v15                                     // 00000000CE18: 7E1E410F
	v_pk_fma_f32 v[16:17], v[16:17], s[46:47], v[168:169]      // 00000000CE1C: D3B04010 1EA05D10
	v_pk_fma_f32 v[18:19], v[18:19], s[46:47], v[168:169]      // 00000000CE24: D3B04012 1EA05D12
	v_exp_f32_e32 v16, v16                                     // 00000000CE2C: 7E204110
	v_exp_f32_e32 v17, v17                                     // 00000000CE30: 7E224111
	v_exp_f32_e32 v18, v18                                     // 00000000CE34: 7E244112
	v_exp_f32_e32 v19, v19                                     // 00000000CE38: 7E264113
	v_max_f32_e32 v198, v189, v195                             // 00000000CE3C: 178D87BD
	v_mul_f32_e64 v168, -s46, v198                             // 00000000CE40: D10500A8 20038C2E
	v_mov_b32_e32 v169, v168                                   // 00000000CE48: 7F5203A8
	v_pk_fma_f32 v[20:21], v[20:21], s[46:47], v[168:169]      // 00000000CE4C: D3B04014 1EA05D14
	v_pk_fma_f32 v[22:23], v[22:23], s[46:47], v[168:169]      // 00000000CE54: D3B04016 1EA05D16
	v_exp_f32_e32 v20, v20                                     // 00000000CE5C: 7E284114
	v_exp_f32_e32 v21, v21                                     // 00000000CE60: 7E2A4115
	v_exp_f32_e32 v22, v22                                     // 00000000CE64: 7E2C4116
	v_exp_f32_e32 v23, v23                                     // 00000000CE68: 7E2E4117
	v_pk_fma_f32 v[24:25], v[24:25], s[46:47], v[168:169]      // 00000000CE6C: D3B04018 1EA05D18
	v_pk_fma_f32 v[26:27], v[26:27], s[46:47], v[168:169]      // 00000000CE74: D3B0401A 1EA05D1A
	v_exp_f32_e32 v24, v24                                     // 00000000CE7C: 7E304118
	v_exp_f32_e32 v25, v25                                     // 00000000CE80: 7E324119
	v_exp_f32_e32 v26, v26                                     // 00000000CE84: 7E34411A
	v_exp_f32_e32 v27, v27                                     // 00000000CE88: 7E36411B
	v_pk_fma_f32 v[28:29], v[28:29], s[46:47], v[168:169]      // 00000000CE8C: D3B0401C 1EA05D1C
	v_pk_fma_f32 v[30:31], v[30:31], s[46:47], v[168:169]      // 00000000CE94: D3B0401E 1EA05D1E
	v_exp_f32_e32 v28, v28                                     // 00000000CE9C: 7E38411C
	v_exp_f32_e32 v29, v29                                     // 00000000CEA0: 7E3A411D
	v_exp_f32_e32 v30, v30                                     // 00000000CEA4: 7E3C411E
	v_exp_f32_e32 v31, v31                                     // 00000000CEA8: 7E3E411F
	v_pk_fma_f32 v[32:33], v[32:33], s[46:47], v[168:169]      // 00000000CEAC: D3B04020 1EA05D20
	v_pk_fma_f32 v[34:35], v[34:35], s[46:47], v[168:169]      // 00000000CEB4: D3B04022 1EA05D22
	v_exp_f32_e32 v32, v32                                     // 00000000CEBC: 7E404120
	v_exp_f32_e32 v33, v33                                     // 00000000CEC0: 7E424121
	v_exp_f32_e32 v34, v34                                     // 00000000CEC4: 7E444122
	v_exp_f32_e32 v35, v35                                     // 00000000CEC8: 7E464123
	v_max_f32_e32 v199, v190, v196                             // 00000000CECC: 178F89BE
	v_mul_f32_e64 v168, -s46, v199                             // 00000000CED0: D10500A8 20038E2E
	v_mov_b32_e32 v169, v168                                   // 00000000CED8: 7F5203A8
	v_pk_fma_f32 v[36:37], v[36:37], s[46:47], v[168:169]      // 00000000CEDC: D3B04024 1EA05D24
	v_pk_fma_f32 v[38:39], v[38:39], s[46:47], v[168:169]      // 00000000CEE4: D3B04026 1EA05D26
	v_exp_f32_e32 v36, v36                                     // 00000000CEEC: 7E484124
	v_exp_f32_e32 v37, v37                                     // 00000000CEF0: 7E4A4125
	v_exp_f32_e32 v38, v38                                     // 00000000CEF4: 7E4C4126
	v_exp_f32_e32 v39, v39                                     // 00000000CEF8: 7E4E4127
	v_pk_fma_f32 v[40:41], v[40:41], s[46:47], v[168:169]      // 00000000CEFC: D3B04028 1EA05D28
	v_pk_fma_f32 v[42:43], v[42:43], s[46:47], v[168:169]      // 00000000CF04: D3B0402A 1EA05D2A
	v_exp_f32_e32 v40, v40                                     // 00000000CF0C: 7E504128
	v_exp_f32_e32 v41, v41                                     // 00000000CF10: 7E524129
	v_exp_f32_e32 v42, v42                                     // 00000000CF14: 7E54412A
	v_exp_f32_e32 v43, v43                                     // 00000000CF18: 7E56412B
	v_mul_f32_e32 v52, v157, v4                                // 00000000CF1C: 0A68099D
	v_mul_f32_e32 v53, v157, v5                                // 00000000CF20: 0A6A0B9D
	v_mul_f32_e32 v54, v157, v6                                // 00000000CF24: 0A6C0D9D
	v_mul_f32_e32 v55, v157, v7                                // 00000000CF28: 0A6E0F9D
	v_mul_f32_e32 v56, v157, v8                                // 00000000CF2C: 0A70119D
	v_mul_f32_e32 v57, v157, v9                                // 00000000CF30: 0A72139D
	v_mul_f32_e32 v58, v157, v10                               // 00000000CF34: 0A74159D
	v_mul_f32_e32 v59, v157, v11                               // 00000000CF38: 0A76179D
	v_mul_f32_e32 v60, v157, v12                               // 00000000CF3C: 0A78199D
	v_mul_f32_e32 v61, v157, v13                               // 00000000CF40: 0A7A1B9D
	v_mul_f32_e32 v62, v157, v14                               // 00000000CF44: 0A7C1D9D
	v_mul_f32_e32 v63, v157, v15                               // 00000000CF48: 0A7E1F9D
	v_mul_f32_e32 v64, v157, v16                               // 00000000CF4C: 0A80219D
	v_mul_f32_e32 v65, v157, v17                               // 00000000CF50: 0A82239D
	v_mul_f32_e32 v66, v157, v18                               // 00000000CF54: 0A84259D
	v_mul_f32_e32 v67, v157, v19                               // 00000000CF58: 0A86279D
	v_mul_f32_e32 v68, v157, v20                               // 00000000CF5C: 0A88299D
	v_mul_f32_e32 v69, v157, v21                               // 00000000CF60: 0A8A2B9D
	v_mul_f32_e32 v70, v157, v22                               // 00000000CF64: 0A8C2D9D
	v_mul_f32_e32 v71, v157, v23                               // 00000000CF68: 0A8E2F9D
	v_mul_f32_e32 v72, v157, v24                               // 00000000CF6C: 0A90319D
	v_mul_f32_e32 v73, v157, v25                               // 00000000CF70: 0A92339D
	v_mul_f32_e32 v74, v157, v26                               // 00000000CF74: 0A94359D
	v_mul_f32_e32 v75, v157, v27                               // 00000000CF78: 0A96379D
	v_mul_f32_e32 v76, v157, v28                               // 00000000CF7C: 0A98399D
	v_mul_f32_e32 v77, v157, v29                               // 00000000CF80: 0A9A3B9D
	v_mul_f32_e32 v78, v157, v30                               // 00000000CF84: 0A9C3D9D
	v_mul_f32_e32 v79, v157, v31                               // 00000000CF88: 0A9E3F9D
	v_mul_f32_e32 v80, v157, v32                               // 00000000CF8C: 0AA0419D
	v_mul_f32_e32 v81, v157, v33                               // 00000000CF90: 0AA2439D
	v_mul_f32_e32 v82, v157, v34                               // 00000000CF94: 0AA4459D
	v_mul_f32_e32 v83, v157, v35                               // 00000000CF98: 0AA6479D
	v_mul_f32_e32 v84, v157, v36                               // 00000000CF9C: 0AA8499D
	v_mul_f32_e32 v85, v157, v37                               // 00000000CFA0: 0AAA4B9D
	v_mul_f32_e32 v86, v157, v38                               // 00000000CFA4: 0AAC4D9D
	v_mul_f32_e32 v87, v157, v39                               // 00000000CFA8: 0AAE4F9D
	v_mul_f32_e32 v88, v157, v40                               // 00000000CFAC: 0AB0519D
	v_mul_f32_e32 v89, v157, v41                               // 00000000CFB0: 0AB2539D
	v_mul_f32_e32 v90, v157, v42                               // 00000000CFB4: 0AB4559D
	v_mul_f32_e32 v91, v157, v43                               // 00000000CFB8: 0AB6579D
	v_add_u32_e32 v168, s64, v222                              // 00000000CFBC: 6951BC40
	v_add_u32_e32 v169, 0, v168                                // 00000000CFC0: 69535080
	v_cmp_lt_u32_e32 vcc, v169, v219                           // 00000000CFC4: 7D93B7A9
	s_nop 0                                                    // 00000000CFC8: BF800000
	v_cndmask_b32_e32 v52, 0, v52, vcc                         // 00000000CFCC: 00686880
	v_add_u32_e32 v169, 1, v168                                // 00000000CFD0: 69535081
	v_cmp_lt_u32_e32 vcc, v169, v219                           // 00000000CFD4: 7D93B7A9
	s_nop 0                                                    // 00000000CFD8: BF800000
	v_cndmask_b32_e32 v53, 0, v53, vcc                         // 00000000CFDC: 006A6A80
	v_add_u32_e32 v169, 2, v168                                // 00000000CFE0: 69535082
	v_cmp_lt_u32_e32 vcc, v169, v219                           // 00000000CFE4: 7D93B7A9
	s_nop 0                                                    // 00000000CFE8: BF800000
	v_cndmask_b32_e32 v54, 0, v54, vcc                         // 00000000CFEC: 006C6C80
	v_add_u32_e32 v169, 3, v168                                // 00000000CFF0: 69535083
	v_cmp_lt_u32_e32 vcc, v169, v219                           // 00000000CFF4: 7D93B7A9
	s_nop 0                                                    // 00000000CFF8: BF800000
	v_cndmask_b32_e32 v55, 0, v55, vcc                         // 00000000CFFC: 006E6E80
	v_add_u32_e32 v169, 64, v168                               // 00000000D000: 695350C0
	v_cmp_lt_u32_e32 vcc, v169, v219                           // 00000000D004: 7D93B7A9
	s_nop 0                                                    // 00000000D008: BF800000
	v_cndmask_b32_e32 v56, 0, v56, vcc                         // 00000000D00C: 00707080
	v_add_u32_e32 v169, 0x41, v168                             // 00000000D010: 695350FF 00000041
	v_cmp_lt_u32_e32 vcc, v169, v219                           // 00000000D018: 7D93B7A9
	s_nop 0                                                    // 00000000D01C: BF800000
	v_cndmask_b32_e32 v57, 0, v57, vcc                         // 00000000D020: 00727280
	v_add_u32_e32 v169, 0x42, v168                             // 00000000D024: 695350FF 00000042
	v_cmp_lt_u32_e32 vcc, v169, v219                           // 00000000D02C: 7D93B7A9
	s_nop 0                                                    // 00000000D030: BF800000
	v_cndmask_b32_e32 v58, 0, v58, vcc                         // 00000000D034: 00747480
	v_add_u32_e32 v169, 0x43, v168                             // 00000000D038: 695350FF 00000043
	v_cmp_lt_u32_e32 vcc, v169, v219                           // 00000000D040: 7D93B7A9
	s_nop 0                                                    // 00000000D044: BF800000
	v_cndmask_b32_e32 v59, 0, v59, vcc                         // 00000000D048: 00767680
	v_add_u32_e32 v169, 0x80, v168                             // 00000000D04C: 695350FF 00000080
	v_cmp_lt_u32_e32 vcc, v169, v219                           // 00000000D054: 7D93B7A9
	s_nop 0                                                    // 00000000D058: BF800000
	v_cndmask_b32_e32 v60, 0, v60, vcc                         // 00000000D05C: 00787880
	v_add_u32_e32 v169, 0x81, v168                             // 00000000D060: 695350FF 00000081
	v_cmp_lt_u32_e32 vcc, v169, v219                           // 00000000D068: 7D93B7A9
	s_nop 0                                                    // 00000000D06C: BF800000
	v_cndmask_b32_e32 v61, 0, v61, vcc                         // 00000000D070: 007A7A80
	v_add_u32_e32 v169, 0x82, v168                             // 00000000D074: 695350FF 00000082
	v_cmp_lt_u32_e32 vcc, v169, v219                           // 00000000D07C: 7D93B7A9
	s_nop 0                                                    // 00000000D080: BF800000
	v_cndmask_b32_e32 v62, 0, v62, vcc                         // 00000000D084: 007C7C80
	v_add_u32_e32 v169, 0x83, v168                             // 00000000D088: 695350FF 00000083
	v_cmp_lt_u32_e32 vcc, v169, v219                           // 00000000D090: 7D93B7A9
	s_nop 0                                                    // 00000000D094: BF800000
	v_cndmask_b32_e32 v63, 0, v63, vcc                         // 00000000D098: 007E7E80
	v_add_u32_e32 v169, 0xc0, v168                             // 00000000D09C: 695350FF 000000C0
	v_cmp_lt_u32_e32 vcc, v169, v219                           // 00000000D0A4: 7D93B7A9
	s_nop 0                                                    // 00000000D0A8: BF800000
	v_cndmask_b32_e32 v64, 0, v64, vcc                         // 00000000D0AC: 00808080
	v_add_u32_e32 v169, 0xc1, v168                             // 00000000D0B0: 695350FF 000000C1
	v_cmp_lt_u32_e32 vcc, v169, v219                           // 00000000D0B8: 7D93B7A9
	s_nop 0                                                    // 00000000D0BC: BF800000
	v_cndmask_b32_e32 v65, 0, v65, vcc                         // 00000000D0C0: 00828280
	v_add_u32_e32 v169, 0xc2, v168                             // 00000000D0C4: 695350FF 000000C2
	v_cmp_lt_u32_e32 vcc, v169, v219                           // 00000000D0CC: 7D93B7A9
	s_nop 0                                                    // 00000000D0D0: BF800000
	v_cndmask_b32_e32 v66, 0, v66, vcc                         // 00000000D0D4: 00848480
	v_add_u32_e32 v169, 0xc3, v168                             // 00000000D0D8: 695350FF 000000C3
	v_cmp_lt_u32_e32 vcc, v169, v219                           // 00000000D0E0: 7D93B7A9
	s_nop 0                                                    // 00000000D0E4: BF800000
	v_cndmask_b32_e32 v67, 0, v67, vcc                         // 00000000D0E8: 00868680
	v_add_u32_e32 v169, 0, v168                                // 00000000D0EC: 69535080
	v_cmp_lt_u32_e32 vcc, v169, v220                           // 00000000D0F0: 7D93B9A9
	s_nop 0                                                    // 00000000D0F4: BF800000
	v_cndmask_b32_e32 v68, 0, v68, vcc                         // 00000000D0F8: 00888880
	v_add_u32_e32 v169, 1, v168                                // 00000000D0FC: 69535081
	v_cmp_lt_u32_e32 vcc, v169, v220                           // 00000000D100: 7D93B9A9
	s_nop 0                                                    // 00000000D104: BF800000
	v_cndmask_b32_e32 v69, 0, v69, vcc                         // 00000000D108: 008A8A80
	v_add_u32_e32 v169, 2, v168                                // 00000000D10C: 69535082
	v_cmp_lt_u32_e32 vcc, v169, v220                           // 00000000D110: 7D93B9A9
	s_nop 0                                                    // 00000000D114: BF800000
	v_cndmask_b32_e32 v70, 0, v70, vcc                         // 00000000D118: 008C8C80
	v_add_u32_e32 v169, 3, v168                                // 00000000D11C: 69535083
	v_cmp_lt_u32_e32 vcc, v169, v220                           // 00000000D120: 7D93B9A9
	s_nop 0                                                    // 00000000D124: BF800000
	v_cndmask_b32_e32 v71, 0, v71, vcc                         // 00000000D128: 008E8E80
	v_add_u32_e32 v169, 64, v168                               // 00000000D12C: 695350C0
	v_cmp_lt_u32_e32 vcc, v169, v220                           // 00000000D130: 7D93B9A9
	s_nop 0                                                    // 00000000D134: BF800000
	v_cndmask_b32_e32 v72, 0, v72, vcc                         // 00000000D138: 00909080
	v_add_u32_e32 v169, 0x41, v168                             // 00000000D13C: 695350FF 00000041
	v_cmp_lt_u32_e32 vcc, v169, v220                           // 00000000D144: 7D93B9A9
	s_nop 0                                                    // 00000000D148: BF800000
	v_cndmask_b32_e32 v73, 0, v73, vcc                         // 00000000D14C: 00929280
	v_add_u32_e32 v169, 0x42, v168                             // 00000000D150: 695350FF 00000042
	v_cmp_lt_u32_e32 vcc, v169, v220                           // 00000000D158: 7D93B9A9
	s_nop 0                                                    // 00000000D15C: BF800000
	v_cndmask_b32_e32 v74, 0, v74, vcc                         // 00000000D160: 00949480
	v_add_u32_e32 v169, 0x43, v168                             // 00000000D164: 695350FF 00000043
	v_cmp_lt_u32_e32 vcc, v169, v220                           // 00000000D16C: 7D93B9A9
	s_nop 0                                                    // 00000000D170: BF800000
	v_cndmask_b32_e32 v75, 0, v75, vcc                         // 00000000D174: 00969680
	v_add_u32_e32 v169, 0x80, v168                             // 00000000D178: 695350FF 00000080
	v_cmp_lt_u32_e32 vcc, v169, v220                           // 00000000D180: 7D93B9A9
	s_nop 0                                                    // 00000000D184: BF800000
	v_cndmask_b32_e32 v76, 0, v76, vcc                         // 00000000D188: 00989880
	v_add_u32_e32 v169, 0x81, v168                             // 00000000D18C: 695350FF 00000081
	v_cmp_lt_u32_e32 vcc, v169, v220                           // 00000000D194: 7D93B9A9
	s_nop 0                                                    // 00000000D198: BF800000
	v_cndmask_b32_e32 v77, 0, v77, vcc                         // 00000000D19C: 009A9A80
	v_add_u32_e32 v169, 0x82, v168                             // 00000000D1A0: 695350FF 00000082
	v_cmp_lt_u32_e32 vcc, v169, v220                           // 00000000D1A8: 7D93B9A9
	s_nop 0                                                    // 00000000D1AC: BF800000
	v_cndmask_b32_e32 v78, 0, v78, vcc                         // 00000000D1B0: 009C9C80
	v_add_u32_e32 v169, 0x83, v168                             // 00000000D1B4: 695350FF 00000083
	v_cmp_lt_u32_e32 vcc, v169, v220                           // 00000000D1BC: 7D93B9A9
	s_nop 0                                                    // 00000000D1C0: BF800000
	v_cndmask_b32_e32 v79, 0, v79, vcc                         // 00000000D1C4: 009E9E80
	v_add_u32_e32 v169, 0xc0, v168                             // 00000000D1C8: 695350FF 000000C0
	v_cmp_lt_u32_e32 vcc, v169, v220                           // 00000000D1D0: 7D93B9A9
	s_nop 0                                                    // 00000000D1D4: BF800000
	v_cndmask_b32_e32 v80, 0, v80, vcc                         // 00000000D1D8: 00A0A080
	v_add_u32_e32 v169, 0xc1, v168                             // 00000000D1DC: 695350FF 000000C1
	v_cmp_lt_u32_e32 vcc, v169, v220                           // 00000000D1E4: 7D93B9A9
	s_nop 0                                                    // 00000000D1E8: BF800000
	v_cndmask_b32_e32 v81, 0, v81, vcc                         // 00000000D1EC: 00A2A280
	v_add_u32_e32 v169, 0xc2, v168                             // 00000000D1F0: 695350FF 000000C2
	v_cmp_lt_u32_e32 vcc, v169, v220                           // 00000000D1F8: 7D93B9A9
	s_nop 0                                                    // 00000000D1FC: BF800000
	v_cndmask_b32_e32 v82, 0, v82, vcc                         // 00000000D200: 00A4A480
	v_add_u32_e32 v169, 0xc3, v168                             // 00000000D204: 695350FF 000000C3
	v_cmp_lt_u32_e32 vcc, v169, v220                           // 00000000D20C: 7D93B9A9
	s_nop 0                                                    // 00000000D210: BF800000
	v_cndmask_b32_e32 v83, 0, v83, vcc                         // 00000000D214: 00A6A680
	v_add_u32_e32 v168, s64, v223                              // 00000000D218: 6951BE40
	v_add_u32_e32 v169, 0, v168                                // 00000000D21C: 69535080
	v_cmp_lt_u32_e32 vcc, v169, v221                           // 00000000D220: 7D93BBA9
	s_nop 0                                                    // 00000000D224: BF800000
	v_cndmask_b32_e32 v84, 0, v84, vcc                         // 00000000D228: 00A8A880
	v_add_u32_e32 v169, 1, v168                                // 00000000D22C: 69535081
	v_cmp_lt_u32_e32 vcc, v169, v221                           // 00000000D230: 7D93BBA9
	s_nop 0                                                    // 00000000D234: BF800000
	v_cndmask_b32_e32 v85, 0, v85, vcc                         // 00000000D238: 00AAAA80
	v_add_u32_e32 v169, 2, v168                                // 00000000D23C: 69535082
	v_cmp_lt_u32_e32 vcc, v169, v221                           // 00000000D240: 7D93BBA9
	s_nop 0                                                    // 00000000D244: BF800000
	v_cndmask_b32_e32 v86, 0, v86, vcc                         // 00000000D248: 00ACAC80
	v_add_u32_e32 v169, 3, v168                                // 00000000D24C: 69535083
	v_cmp_lt_u32_e32 vcc, v169, v221                           // 00000000D250: 7D93BBA9
	s_nop 0                                                    // 00000000D254: BF800000
	v_cndmask_b32_e32 v87, 0, v87, vcc                         // 00000000D258: 00AEAE80
	v_add_u32_e32 v169, 64, v168                               // 00000000D25C: 695350C0
	v_cmp_lt_u32_e32 vcc, v169, v221                           // 00000000D260: 7D93BBA9
	s_nop 0                                                    // 00000000D264: BF800000
	v_cndmask_b32_e32 v88, 0, v88, vcc                         // 00000000D268: 00B0B080
	v_add_u32_e32 v169, 0x41, v168                             // 00000000D26C: 695350FF 00000041
	v_cmp_lt_u32_e32 vcc, v169, v221                           // 00000000D274: 7D93BBA9
	s_nop 0                                                    // 00000000D278: BF800000
	v_cndmask_b32_e32 v89, 0, v89, vcc                         // 00000000D27C: 00B2B280
	v_add_u32_e32 v169, 0x42, v168                             // 00000000D280: 695350FF 00000042
	v_cmp_lt_u32_e32 vcc, v169, v221                           // 00000000D288: 7D93BBA9
	s_nop 0                                                    // 00000000D28C: BF800000
	v_cndmask_b32_e32 v90, 0, v90, vcc                         // 00000000D290: 00B4B480
	v_add_u32_e32 v169, 0x43, v168                             // 00000000D294: 695350FF 00000043
	v_cmp_lt_u32_e32 vcc, v169, v221                           // 00000000D29C: 7D93BBA9
	s_nop 0                                                    // 00000000D2A0: BF800000
	v_cndmask_b32_e32 v91, 0, v91, vcc                         // 00000000D2A4: 00B6B680
	buffer_load_dword v154, v238, s[20:23], 0 offen            // 00000000D2A8: E0501000 80059AEE
	v_sub_f32_e32 v200, v194, v197                             // 00000000D2B0: 05918BC2
	v_cmp_eq_u32_e64 s[98:99], v225, v194                      // 00000000D2B4: D0CA0062 000385E1
	v_cndmask_b32_e64 v200, v200, 0, s[98:99]                  // 00000000D2BC: D10000C8 018901C8
	v_mov_b32_e32 v194, v197                                   // 00000000D2C4: 7F8403C5
	v_mul_f32_e32 v200, s46, v200                              // 00000000D2C8: 0B91902E
	v_exp_f32_e32 v200, v200                                   // 00000000D2CC: 7F9041C8
	v_sub_f32_e32 v202, v195, v198                             // 00000000D2D0: 05958DC3
	v_cmp_eq_u32_e64 s[98:99], v225, v195                      // 00000000D2D4: D0CA0062 000387E1
	v_cndmask_b32_e64 v202, v202, 0, s[98:99]                  // 00000000D2DC: D10000CA 018901CA
	v_mov_b32_e32 v195, v198                                   // 00000000D2E4: 7F8603C6
	v_mul_f32_e32 v202, s46, v202                              // 00000000D2E8: 0B95942E
	v_exp_f32_e32 v202, v202                                   // 00000000D2EC: 7F9441CA
	v_sub_f32_e32 v204, v196, v199                             // 00000000D2F0: 05998FC4
	v_cmp_eq_u32_e64 s[98:99], v225, v196                      // 00000000D2F4: D0CA0062 000389E1
	v_cndmask_b32_e64 v204, v204, 0, s[98:99]                  // 00000000D2FC: D10000CC 018901CC
	v_mov_b32_e32 v196, v199                                   // 00000000D304: 7F8803C7
	v_mul_f32_e32 v204, s46, v204                              // 00000000D308: 0B99982E
	v_exp_f32_e32 v204, v204                                   // 00000000D30C: 7F9841CC
	v_mov_b32_e32 v201, v200                                   // 00000000D310: 7F9203C8
	v_mov_b32_e32 v203, v202                                   // 00000000D314: 7F9603CA
	v_mov_b32_e32 v205, v204                                   // 00000000D318: 7F9A03CC
	s_waitcnt lgkmcnt(0)                                       // 00000000D31C: BF8CC07F
	s_barrier                                                  // 00000000D320: BF8A0000
	buffer_load_dword v156, v239, s[24:27], 0 offen            // 00000000D324: E0501000 80069CEF
	v_mul_f32_e32 v206, v200, v206                             // 00000000D32C: 0B9D9DC8
	v_mov_b32_e32 v207, 0                                      // 00000000D330: 7F9E0280
	v_pk_add_f32 v[206:207], v[4:5], v[206:207]                // 00000000D334: D3B240CE 18039D04
	v_pk_add_f32 v[206:207], v[6:7], v[206:207]                // 00000000D33C: D3B240CE 18039D06
	v_pk_add_f32 v[206:207], v[8:9], v[206:207]                // 00000000D344: D3B240CE 18039D08
	v_pk_add_f32 v[206:207], v[10:11], v[206:207]              // 00000000D34C: D3B240CE 18039D0A
	v_pk_add_f32 v[206:207], v[12:13], v[206:207]              // 00000000D354: D3B240CE 18039D0C
	v_pk_add_f32 v[206:207], v[14:15], v[206:207]              // 00000000D35C: D3B240CE 18039D0E
	v_pk_add_f32 v[206:207], v[16:17], v[206:207]              // 00000000D364: D3B240CE 18039D10
	v_pk_add_f32 v[206:207], v[18:19], v[206:207]              // 00000000D36C: D3B240CE 18039D12
	v_add_f32_e32 v206, v207, v206                             // 00000000D374: 039D9DCF
	v_mul_f32_e32 v208, v202, v208                             // 00000000D378: 0BA1A1CA
	v_mov_b32_e32 v209, 0                                      // 00000000D37C: 7FA20280
	v_pk_add_f32 v[208:209], v[20:21], v[208:209]              // 00000000D380: D3B240D0 1803A114
	v_pk_add_f32 v[208:209], v[22:23], v[208:209]              // 00000000D388: D3B240D0 1803A116
	v_pk_add_f32 v[208:209], v[24:25], v[208:209]              // 00000000D390: D3B240D0 1803A118
	v_pk_add_f32 v[208:209], v[26:27], v[208:209]              // 00000000D398: D3B240D0 1803A11A
	v_pk_add_f32 v[208:209], v[28:29], v[208:209]              // 00000000D3A0: D3B240D0 1803A11C
	v_pk_add_f32 v[208:209], v[30:31], v[208:209]              // 00000000D3A8: D3B240D0 1803A11E
	v_pk_add_f32 v[208:209], v[32:33], v[208:209]              // 00000000D3B0: D3B240D0 1803A120
	v_pk_add_f32 v[208:209], v[34:35], v[208:209]              // 00000000D3B8: D3B240D0 1803A122
	v_add_f32_e32 v208, v209, v208                             // 00000000D3C0: 03A1A1D1
	v_mul_f32_e32 v210, v204, v210                             // 00000000D3C4: 0BA5A5CC
	v_mov_b32_e32 v211, 0                                      // 00000000D3C8: 7FA60280
	v_pk_add_f32 v[210:211], v[36:37], v[210:211]              // 00000000D3CC: D3B240D2 1803A524
	v_pk_add_f32 v[210:211], v[38:39], v[210:211]              // 00000000D3D4: D3B240D2 1803A526
	v_pk_add_f32 v[210:211], v[40:41], v[210:211]              // 00000000D3DC: D3B240D2 1803A528
	v_pk_add_f32 v[210:211], v[42:43], v[210:211]              // 00000000D3E4: D3B240D2 1803A52A
	v_add_f32_e32 v210, v211, v210                             // 00000000D3EC: 03A5A5D3
	s_waitcnt lgkmcnt(0)                                       // 00000000D3F0: BF8CC07F
	v_sub_f32_e32 v188, v188, v194                             // 00000000D3F4: 057985BC
	v_sub_f32_e32 v189, v189, v195                             // 00000000D3F8: 057B87BD
	v_sub_f32_e32 v190, v190, v196                             // 00000000D3FC: 057D89BE
	v_mul_f32_e32 v188, s46, v188                              // 00000000D400: 0B79782E
	v_mul_f32_e32 v189, s46, v189                              // 00000000D404: 0B7B7A2E
	v_mul_f32_e32 v190, s46, v190                              // 00000000D408: 0B7D7C2E
	v_exp_f32_e32 v188, v188                                   // 00000000D40C: 7F7841BC
	v_exp_f32_e32 v189, v189                                   // 00000000D410: 7F7A41BD
	v_exp_f32_e32 v190, v190                                   // 00000000D414: 7F7C41BE
	v_mul_f32_e32 v188, v157, v188                             // 00000000D418: 0B79799D
	v_mul_f32_e32 v189, v157, v189                             // 00000000D41C: 0B7B7B9D
	v_mul_f32_e32 v190, v157, v190                             // 00000000D420: 0B7D7D9D
	v_add_f32_e32 v188, 0x3089705f, v188                       // 00000000D424: 037978FF 3089705F
	v_add_f32_e32 v189, 0x3089705f, v189                       // 00000000D42C: 037B7AFF 3089705F
	v_add_f32_e32 v190, 0x3089705f, v190                       // 00000000D434: 037D7CFF 3089705F
	v_rcp_f32_e32 v188, v188                                   // 00000000D43C: 7F7845BC
	v_rcp_f32_e32 v189, v189                                   // 00000000D440: 7F7A45BD
	v_rcp_f32_e32 v190, v190                                   // 00000000D444: 7F7C45BE
	v_mul_f32_e32 v188, 0x43700000, v188                       // 00000000D448: 0B7978FF 43700000
	v_mul_f32_e32 v189, 0x43700000, v189                       // 00000000D450: 0B7B7AFF 43700000
	v_mul_f32_e32 v190, 0x43700000, v190                       // 00000000D458: 0B7D7CFF 43700000
	v_mov_b32_e32 v192, v190                                   // 00000000D460: 7F8003BE
	v_mov_b32_e32 v193, v190                                   // 00000000D464: 7F8203BE
	v_mov_b32_e32 v190, v189                                   // 00000000D468: 7F7C03BD
	v_mov_b32_e32 v191, v189                                   // 00000000D46C: 7F7E03BD
	v_mov_b32_e32 v189, v188                                   // 00000000D470: 7F7A03BC
	v_pk_mul_f32 v[4:5], v[188:189], v[52:53]                  // 00000000D474: D3B14004 180269BC
	v_pk_mul_f32 v[6:7], v[188:189], v[54:55]                  // 00000000D47C: D3B14006 18026DBC
	v_pk_mul_f32 v[8:9], v[188:189], v[56:57]                  // 00000000D484: D3B14008 180271BC
	v_pk_mul_f32 v[10:11], v[188:189], v[58:59]                // 00000000D48C: D3B1400A 180275BC
	v_pk_mul_f32 v[12:13], v[188:189], v[60:61]                // 00000000D494: D3B1400C 180279BC
	v_pk_mul_f32 v[14:15], v[188:189], v[62:63]                // 00000000D49C: D3B1400E 18027DBC
	v_pk_mul_f32 v[16:17], v[188:189], v[64:65]                // 00000000D4A4: D3B14010 180281BC
	v_pk_mul_f32 v[18:19], v[188:189], v[66:67]                // 00000000D4AC: D3B14012 180285BC
	v_pk_mul_f32 v[20:21], v[190:191], v[68:69]                // 00000000D4B4: D3B14014 180289BE
	v_pk_mul_f32 v[22:23], v[190:191], v[70:71]                // 00000000D4BC: D3B14016 18028DBE
	v_pk_mul_f32 v[24:25], v[190:191], v[72:73]                // 00000000D4C4: D3B14018 180291BE
	v_pk_mul_f32 v[26:27], v[190:191], v[74:75]                // 00000000D4CC: D3B1401A 180295BE
	v_pk_mul_f32 v[28:29], v[190:191], v[76:77]                // 00000000D4D4: D3B1401C 180299BE
	v_pk_mul_f32 v[30:31], v[190:191], v[78:79]                // 00000000D4DC: D3B1401E 18029DBE
	v_pk_mul_f32 v[32:33], v[190:191], v[80:81]                // 00000000D4E4: D3B14020 1802A1BE
	v_pk_mul_f32 v[34:35], v[190:191], v[82:83]                // 00000000D4EC: D3B14022 1802A5BE
	v_pk_mul_f32 v[36:37], v[192:193], v[84:85]                // 00000000D4F4: D3B14024 1802A9C0
	v_pk_mul_f32 v[38:39], v[192:193], v[86:87]                // 00000000D4FC: D3B14026 1802ADC0
	v_pk_mul_f32 v[40:41], v[192:193], v[88:89]                // 00000000D504: D3B14028 1802B1C0
	v_pk_mul_f32 v[42:43], v[192:193], v[90:91]                // 00000000D50C: D3B1402A 1802B5C0
	v_cvt_pk_fp8_f32 v4, v4, v5                                // 00000000D514: D2A20004 00020B04
	v_cvt_pk_fp8_f32 v4, v6, v7 op_sel:[0,0,1]                 // 00000000D51C: D2A24004 00020F06
	v_cvt_pk_fp8_f32 v5, v8, v9                                // 00000000D524: D2A20005 00021308
	v_cvt_pk_fp8_f32 v5, v10, v11 op_sel:[0,0,1]               // 00000000D52C: D2A24005 0002170A
	v_cvt_pk_fp8_f32 v6, v12, v13                              // 00000000D534: D2A20006 00021B0C
	v_cvt_pk_fp8_f32 v6, v14, v15 op_sel:[0,0,1]               // 00000000D53C: D2A24006 00021F0E
	v_cvt_pk_fp8_f32 v7, v16, v17                              // 00000000D544: D2A20007 00022310
	v_cvt_pk_fp8_f32 v7, v18, v19 op_sel:[0,0,1]               // 00000000D54C: D2A24007 00022712
	v_cvt_pk_fp8_f32 v8, v20, v21                              // 00000000D554: D2A20008 00022B14
	v_cvt_pk_fp8_f32 v8, v22, v23 op_sel:[0,0,1]               // 00000000D55C: D2A24008 00022F16
	v_cvt_pk_fp8_f32 v9, v24, v25                              // 00000000D564: D2A20009 00023318
	v_cvt_pk_fp8_f32 v9, v26, v27 op_sel:[0,0,1]               // 00000000D56C: D2A24009 0002371A
	v_cvt_pk_fp8_f32 v10, v28, v29                             // 00000000D574: D2A2000A 00023B1C
	v_cvt_pk_fp8_f32 v10, v30, v31 op_sel:[0,0,1]              // 00000000D57C: D2A2400A 00023F1E
	v_cvt_pk_fp8_f32 v11, v32, v33                             // 00000000D584: D2A2000B 00024320
	v_cvt_pk_fp8_f32 v11, v34, v35 op_sel:[0,0,1]              // 00000000D58C: D2A2400B 00024722
	v_cvt_pk_fp8_f32 v12, v36, v37                             // 00000000D594: D2A2000C 00024B24
	v_cvt_pk_fp8_f32 v12, v38, v39 op_sel:[0,0,1]              // 00000000D59C: D2A2400C 00024F26
	v_cvt_pk_fp8_f32 v13, v40, v41                             // 00000000D5A4: D2A2000D 00025328
	v_cvt_pk_fp8_f32 v13, v42, v43 op_sel:[0,0,1]              // 00000000D5AC: D2A2400D 0002572A
	v_mov_b32_dpp v14, v12 row_shl:8 row_mask:0xf bank_mask:0xf bound_ctrl:1// 00000000D5B4: 7E1C02FA FF09080C
	v_and_b32_e32 v12, v12, v224                               // 00000000D5BC: 2619C10C
	v_mov_b32_dpp v15, v13 row_shl:8 row_mask:0xf bank_mask:0xf bound_ctrl:1// 00000000D5C0: 7E1E02FA FF09080D
	v_and_b32_e32 v13, v13, v224                               // 00000000D5C8: 261BC10D
	ds_write_b32 v254, v4 offset:8192                          // 00000000D5CC: D81A2000 000004FE
	ds_write_b32 v254, v5 offset:9216                          // 00000000D5D4: D81A2400 000005FE
	ds_write_b32 v254, v6 offset:10240                         // 00000000D5DC: D81A2800 000006FE
	ds_write_b32 v254, v7 offset:11264                         // 00000000D5E4: D81A2C00 000007FE
	ds_write_b32 v254, v8 offset:12288                         // 00000000D5EC: D81A3000 000008FE
	ds_write_b32 v254, v9 offset:13312                         // 00000000D5F4: D81A3400 000009FE
	ds_write_b32 v254, v10 offset:14336                        // 00000000D5FC: D81A3800 00000AFE
	ds_write_b32 v254, v11 offset:15360                        // 00000000D604: D81A3C00 00000BFE
	ds_write_b32 v254, v12 offset:16384                        // 00000000D60C: D81A4000 00000CFE
	ds_write_b32 v254, v13 offset:17408                        // 00000000D614: D81A4400 00000DFE
	ds_write_b32 v254, v14 offset:18432                        // 00000000D61C: D81A4800 00000EFE
	ds_write_b32 v254, v15 offset:19456                        // 00000000D624: D81A4C00 00000FFE
	v_rcp_f32_e32 v158, v188                                   // 00000000D62C: 7F3C45BC
	v_rcp_f32_e32 v160, v190                                   // 00000000D630: 7F4045BE
	v_rcp_f32_e32 v162, v192                                   // 00000000D634: 7F4445C0
	v_mov_b32_e32 v159, v158                                   // 00000000D638: 7F3E039E
	v_mov_b32_e32 v161, v160                                   // 00000000D63C: 7F4203A0
	v_mov_b32_e32 v163, v162                                   // 00000000D640: 7F4603A2
	v_pk_add_f32 v[124:125], v[124:125], v[100:101]            // 00000000D644: D3B2407C 1802C97C
	v_pk_add_f32 v[126:127], v[126:127], v[102:103]            // 00000000D64C: D3B2407E 1802CD7E
	v_pk_add_f32 v[128:129], v[128:129], v[104:105]            // 00000000D654: D3B24080 1802D180
	v_pk_add_f32 v[130:131], v[130:131], v[106:107]            // 00000000D65C: D3B24082 1802D582
	v_pk_add_f32 v[132:133], v[132:133], v[108:109]            // 00000000D664: D3B24084 1802D984
	v_pk_add_f32 v[134:135], v[134:135], v[110:111]            // 00000000D66C: D3B24086 1802DD86
	v_pk_add_f32 v[136:137], v[136:137], v[112:113]            // 00000000D674: D3B24088 1802E188
	v_pk_add_f32 v[138:139], v[138:139], v[114:115]            // 00000000D67C: D3B2408A 1802E58A
	v_pk_add_f32 v[140:141], v[140:141], v[116:117]            // 00000000D684: D3B2408C 1802E98C
	v_pk_add_f32 v[142:143], v[142:143], v[118:119]            // 00000000D68C: D3B2408E 1802ED8E
	v_pk_add_f32 v[144:145], v[144:145], v[120:121]            // 00000000D694: D3B24090 1802F190
	v_pk_add_f32 v[146:147], v[146:147], v[122:123]            // 00000000D69C: D3B24092 1802F592
	s_waitcnt lgkmcnt(0)                                       // 00000000D6A4: BF8CC07F
	s_barrier                                                  // 00000000D6A8: BF8A0000
	ds_read_b128 v[4:7], v255 offset:8192                      // 00000000D6AC: D9FE2000 040000FF
	ds_read_b128 v[8:11], v255 offset:9216                     // 00000000D6B4: D9FE2400 080000FF
	ds_read_b128 v[12:15], v255 offset:10240                   // 00000000D6BC: D9FE2800 0C0000FF
	ds_read_b128 v[16:19], v255 offset:11264                   // 00000000D6C4: D9FE2C00 100000FF
	ds_read_b128 v[20:23], v255 offset:12288                   // 00000000D6CC: D9FE3000 140000FF
	ds_read_b128 v[24:27], v255 offset:13312                   // 00000000D6D4: D9FE3400 180000FF
	ds_read_b128 v[28:31], v255 offset:14336                   // 00000000D6DC: D9FE3800 1C0000FF
	ds_read_b128 v[32:35], v255 offset:15360                   // 00000000D6E4: D9FE3C00 200000FF
	ds_read_b128 v[36:39], v255 offset:16384                   // 00000000D6EC: D9FE4000 240000FF
	ds_read_b128 v[40:43], v255 offset:17408                   // 00000000D6F4: D9FE4400 280000FF
	ds_read_b128 v[44:47], v255 offset:18432                   // 00000000D6FC: D9FE4800 2C0000FF
	ds_read_b128 v[48:51], v255 offset:19456                   // 00000000D704: D9FE4C00 300000FF
	s_waitcnt vmcnt(10)                                        // 00000000D70C: BF8C0F7A
	v_lshrrev_b32_e32 v1, 4, v0                                // 00000000D710: 20020084
	v_lshlrev_b32_e32 v1, 4, v1                                // 00000000D714: 24020284
	v_add_u32_e32 v168, s64, v1                                // 00000000D718: 69500240
	v_add_u32_e32 v168, 4, v168                                // 00000000D71C: 69515084
	v_sub_i32 v168, v168, s62                                  // 00000000D720: D29D00A8 00007DA8
	s_mov_b32 s54, 0                                           // 00000000D728: BEB60080
	v_add_i32 v169, s54, v168                                  // 00000000D72C: D29C00A9 00035036
	v_cmp_lt_i32_e64 vcc, v169, 4                              // 00000000D734: D0C1006A 000109A9
	v_min_u32_e32 v169, 4, v169                                // 00000000D73C: 1D535284
	v_lshlrev_b32_e32 v169, 3, v169                            // 00000000D740: 25535283
	v_lshrrev_b32_e64 v170, v169, -1                           // 00000000D744: D11000AA 000183A9
	v_accvgpr_read_b32 v171, a120                              // 00000000D74C: D3D840AB 18000178
	v_cndmask_b32_e32 v171, 0, v171, vcc                       // 00000000D754: 01575680
	v_and_b32_e32 v171, v171, v170                             // 00000000D758: 275755AB
	v_accvgpr_write_b32 a120, v171                             // 00000000D75C: D3D94078 180001AB
	v_accvgpr_read_b32 v171, a136                              // 00000000D764: D3D840AB 18000188
	v_cndmask_b32_e32 v171, 0, v171, vcc                       // 00000000D76C: 01575680
	v_and_b32_e32 v171, v171, v170                             // 00000000D770: 275755AB
	v_accvgpr_write_b32 a136, v171                             // 00000000D774: D3D94088 180001AB
	s_mov_b32 s54, 4                                           // 00000000D77C: BEB60084
	v_add_i32 v169, s54, v168                                  // 00000000D780: D29C00A9 00035036
	v_cmp_lt_i32_e64 vcc, v169, 4                              // 00000000D788: D0C1006A 000109A9
	v_min_u32_e32 v169, 4, v169                                // 00000000D790: 1D535284
	v_lshlrev_b32_e32 v169, 3, v169                            // 00000000D794: 25535283
	v_lshrrev_b32_e64 v170, v169, -1                           // 00000000D798: D11000AA 000183A9
	v_accvgpr_read_b32 v171, a121                              // 00000000D7A0: D3D840AB 18000179
	v_cndmask_b32_e32 v171, 0, v171, vcc                       // 00000000D7A8: 01575680
	v_and_b32_e32 v171, v171, v170                             // 00000000D7AC: 275755AB
	v_accvgpr_write_b32 a121, v171                             // 00000000D7B0: D3D94079 180001AB
	v_accvgpr_read_b32 v171, a137                              // 00000000D7B8: D3D840AB 18000189
	v_cndmask_b32_e32 v171, 0, v171, vcc                       // 00000000D7C0: 01575680
	v_and_b32_e32 v171, v171, v170                             // 00000000D7C4: 275755AB
	v_accvgpr_write_b32 a137, v171                             // 00000000D7C8: D3D94089 180001AB
	s_mov_b32 s54, 8                                           // 00000000D7D0: BEB60088
	v_add_i32 v169, s54, v168                                  // 00000000D7D4: D29C00A9 00035036
	v_cmp_lt_i32_e64 vcc, v169, 4                              // 00000000D7DC: D0C1006A 000109A9
	v_min_u32_e32 v169, 4, v169                                // 00000000D7E4: 1D535284
	v_lshlrev_b32_e32 v169, 3, v169                            // 00000000D7E8: 25535283
	v_lshrrev_b32_e64 v170, v169, -1                           // 00000000D7EC: D11000AA 000183A9
	v_accvgpr_read_b32 v171, a122                              // 00000000D7F4: D3D840AB 1800017A
	v_cndmask_b32_e32 v171, 0, v171, vcc                       // 00000000D7FC: 01575680
	v_and_b32_e32 v171, v171, v170                             // 00000000D800: 275755AB
	v_accvgpr_write_b32 a122, v171                             // 00000000D804: D3D9407A 180001AB
	v_accvgpr_read_b32 v171, a138                              // 00000000D80C: D3D840AB 1800018A
	v_cndmask_b32_e32 v171, 0, v171, vcc                       // 00000000D814: 01575680
	v_and_b32_e32 v171, v171, v170                             // 00000000D818: 275755AB
	v_accvgpr_write_b32 a138, v171                             // 00000000D81C: D3D9408A 180001AB
	s_mov_b32 s54, 12                                          // 00000000D824: BEB6008C
	v_add_i32 v169, s54, v168                                  // 00000000D828: D29C00A9 00035036
	v_cmp_lt_i32_e64 vcc, v169, 4                              // 00000000D830: D0C1006A 000109A9
	v_min_u32_e32 v169, 4, v169                                // 00000000D838: 1D535284
	v_lshlrev_b32_e32 v169, 3, v169                            // 00000000D83C: 25535283
	v_lshrrev_b32_e64 v170, v169, -1                           // 00000000D840: D11000AA 000183A9
	v_accvgpr_read_b32 v171, a123                              // 00000000D848: D3D840AB 1800017B
	v_cndmask_b32_e32 v171, 0, v171, vcc                       // 00000000D850: 01575680
	v_and_b32_e32 v171, v171, v170                             // 00000000D854: 275755AB
	v_accvgpr_write_b32 a123, v171                             // 00000000D858: D3D9407B 180001AB
	v_accvgpr_read_b32 v171, a139                              // 00000000D860: D3D840AB 1800018B
	v_cndmask_b32_e32 v171, 0, v171, vcc                       // 00000000D868: 01575680
	v_and_b32_e32 v171, v171, v170                             // 00000000D86C: 275755AB
	v_accvgpr_write_b32 a139, v171                             // 00000000D870: D3D9408B 180001AB
	s_mov_b32 s54, 64                                          // 00000000D878: BEB600C0
	v_add_i32 v169, s54, v168                                  // 00000000D87C: D29C00A9 00035036
	v_cmp_lt_i32_e64 vcc, v169, 4                              // 00000000D884: D0C1006A 000109A9
	v_min_u32_e32 v169, 4, v169                                // 00000000D88C: 1D535284
	v_lshlrev_b32_e32 v169, 3, v169                            // 00000000D890: 25535283
	v_lshrrev_b32_e64 v170, v169, -1                           // 00000000D894: D11000AA 000183A9
	v_accvgpr_read_b32 v171, a124                              // 00000000D89C: D3D840AB 1800017C
	v_cndmask_b32_e32 v171, 0, v171, vcc                       // 00000000D8A4: 01575680
	v_and_b32_e32 v171, v171, v170                             // 00000000D8A8: 275755AB
	v_accvgpr_write_b32 a124, v171                             // 00000000D8AC: D3D9407C 180001AB
	v_accvgpr_read_b32 v171, a140                              // 00000000D8B4: D3D840AB 1800018C
	v_cndmask_b32_e32 v171, 0, v171, vcc                       // 00000000D8BC: 01575680
	v_and_b32_e32 v171, v171, v170                             // 00000000D8C0: 275755AB
	v_accvgpr_write_b32 a140, v171                             // 00000000D8C4: D3D9408C 180001AB
	s_mov_b32 s54, 0x44                                        // 00000000D8CC: BEB600FF 00000044
	v_add_i32 v169, s54, v168                                  // 00000000D8D4: D29C00A9 00035036
	v_cmp_lt_i32_e64 vcc, v169, 4                              // 00000000D8DC: D0C1006A 000109A9
	v_min_u32_e32 v169, 4, v169                                // 00000000D8E4: 1D535284
	v_lshlrev_b32_e32 v169, 3, v169                            // 00000000D8E8: 25535283
	v_lshrrev_b32_e64 v170, v169, -1                           // 00000000D8EC: D11000AA 000183A9
	v_accvgpr_read_b32 v171, a125                              // 00000000D8F4: D3D840AB 1800017D
	v_cndmask_b32_e32 v171, 0, v171, vcc                       // 00000000D8FC: 01575680
	v_and_b32_e32 v171, v171, v170                             // 00000000D900: 275755AB
	v_accvgpr_write_b32 a125, v171                             // 00000000D904: D3D9407D 180001AB
	v_accvgpr_read_b32 v171, a141                              // 00000000D90C: D3D840AB 1800018D
	v_cndmask_b32_e32 v171, 0, v171, vcc                       // 00000000D914: 01575680
	v_and_b32_e32 v171, v171, v170                             // 00000000D918: 275755AB
	v_accvgpr_write_b32 a141, v171                             // 00000000D91C: D3D9408D 180001AB
	s_mov_b32 s54, 0x48                                        // 00000000D924: BEB600FF 00000048
	v_add_i32 v169, s54, v168                                  // 00000000D92C: D29C00A9 00035036
	v_cmp_lt_i32_e64 vcc, v169, 4                              // 00000000D934: D0C1006A 000109A9
	v_min_u32_e32 v169, 4, v169                                // 00000000D93C: 1D535284
	v_lshlrev_b32_e32 v169, 3, v169                            // 00000000D940: 25535283
	v_lshrrev_b32_e64 v170, v169, -1                           // 00000000D944: D11000AA 000183A9
	v_accvgpr_read_b32 v171, a126                              // 00000000D94C: D3D840AB 1800017E
	v_cndmask_b32_e32 v171, 0, v171, vcc                       // 00000000D954: 01575680
	v_and_b32_e32 v171, v171, v170                             // 00000000D958: 275755AB
	v_accvgpr_write_b32 a126, v171                             // 00000000D95C: D3D9407E 180001AB
	v_accvgpr_read_b32 v171, a142                              // 00000000D964: D3D840AB 1800018E
	v_cndmask_b32_e32 v171, 0, v171, vcc                       // 00000000D96C: 01575680
	v_and_b32_e32 v171, v171, v170                             // 00000000D970: 275755AB
	v_accvgpr_write_b32 a142, v171                             // 00000000D974: D3D9408E 180001AB
	s_mov_b32 s54, 0x4c                                        // 00000000D97C: BEB600FF 0000004C
	v_add_i32 v169, s54, v168                                  // 00000000D984: D29C00A9 00035036
	v_cmp_lt_i32_e64 vcc, v169, 4                              // 00000000D98C: D0C1006A 000109A9
	v_min_u32_e32 v169, 4, v169                                // 00000000D994: 1D535284
	v_lshlrev_b32_e32 v169, 3, v169                            // 00000000D998: 25535283
	v_lshrrev_b32_e64 v170, v169, -1                           // 00000000D99C: D11000AA 000183A9
	v_accvgpr_read_b32 v171, a127                              // 00000000D9A4: D3D840AB 1800017F
	v_cndmask_b32_e32 v171, 0, v171, vcc                       // 00000000D9AC: 01575680
	v_and_b32_e32 v171, v171, v170                             // 00000000D9B0: 275755AB
	v_accvgpr_write_b32 a127, v171                             // 00000000D9B4: D3D9407F 180001AB
	v_accvgpr_read_b32 v171, a143                              // 00000000D9BC: D3D840AB 1800018F
	v_cndmask_b32_e32 v171, 0, v171, vcc                       // 00000000D9C4: 01575680
	v_and_b32_e32 v171, v171, v170                             // 00000000D9C8: 275755AB
	v_accvgpr_write_b32 a143, v171                             // 00000000D9CC: D3D9408F 180001AB
	s_mov_b32 s54, 0x80                                        // 00000000D9D4: BEB600FF 00000080
	v_add_i32 v169, s54, v168                                  // 00000000D9DC: D29C00A9 00035036
	v_cmp_lt_i32_e64 vcc, v169, 4                              // 00000000D9E4: D0C1006A 000109A9
	v_min_u32_e32 v169, 4, v169                                // 00000000D9EC: 1D535284
	v_lshlrev_b32_e32 v169, 3, v169                            // 00000000D9F0: 25535283
	v_lshrrev_b32_e64 v170, v169, -1                           // 00000000D9F4: D11000AA 000183A9
	v_accvgpr_read_b32 v171, a128                              // 00000000D9FC: D3D840AB 18000180
	v_cndmask_b32_e32 v171, 0, v171, vcc                       // 00000000DA04: 01575680
	v_and_b32_e32 v171, v171, v170                             // 00000000DA08: 275755AB
	v_accvgpr_write_b32 a128, v171                             // 00000000DA0C: D3D94080 180001AB
	v_accvgpr_read_b32 v171, a144                              // 00000000DA14: D3D840AB 18000190
	v_cndmask_b32_e32 v171, 0, v171, vcc                       // 00000000DA1C: 01575680
	v_and_b32_e32 v171, v171, v170                             // 00000000DA20: 275755AB
	v_accvgpr_write_b32 a144, v171                             // 00000000DA24: D3D94090 180001AB
	s_mov_b32 s54, 0x84                                        // 00000000DA2C: BEB600FF 00000084
	v_add_i32 v169, s54, v168                                  // 00000000DA34: D29C00A9 00035036
	v_cmp_lt_i32_e64 vcc, v169, 4                              // 00000000DA3C: D0C1006A 000109A9
	v_min_u32_e32 v169, 4, v169                                // 00000000DA44: 1D535284
	v_lshlrev_b32_e32 v169, 3, v169                            // 00000000DA48: 25535283
	v_lshrrev_b32_e64 v170, v169, -1                           // 00000000DA4C: D11000AA 000183A9
	v_accvgpr_read_b32 v171, a129                              // 00000000DA54: D3D840AB 18000181
	v_cndmask_b32_e32 v171, 0, v171, vcc                       // 00000000DA5C: 01575680
	v_and_b32_e32 v171, v171, v170                             // 00000000DA60: 275755AB
	v_accvgpr_write_b32 a129, v171                             // 00000000DA64: D3D94081 180001AB
	v_accvgpr_read_b32 v171, a145                              // 00000000DA6C: D3D840AB 18000191
	v_cndmask_b32_e32 v171, 0, v171, vcc                       // 00000000DA74: 01575680
	v_and_b32_e32 v171, v171, v170                             // 00000000DA78: 275755AB
	v_accvgpr_write_b32 a145, v171                             // 00000000DA7C: D3D94091 180001AB
	s_mov_b32 s54, 0x88                                        // 00000000DA84: BEB600FF 00000088
	v_add_i32 v169, s54, v168                                  // 00000000DA8C: D29C00A9 00035036
	v_cmp_lt_i32_e64 vcc, v169, 4                              // 00000000DA94: D0C1006A 000109A9
	v_min_u32_e32 v169, 4, v169                                // 00000000DA9C: 1D535284
	v_lshlrev_b32_e32 v169, 3, v169                            // 00000000DAA0: 25535283
	v_lshrrev_b32_e64 v170, v169, -1                           // 00000000DAA4: D11000AA 000183A9
	v_accvgpr_read_b32 v171, a130                              // 00000000DAAC: D3D840AB 18000182
	v_cndmask_b32_e32 v171, 0, v171, vcc                       // 00000000DAB4: 01575680
	v_and_b32_e32 v171, v171, v170                             // 00000000DAB8: 275755AB
	v_accvgpr_write_b32 a130, v171                             // 00000000DABC: D3D94082 180001AB
	v_accvgpr_read_b32 v171, a146                              // 00000000DAC4: D3D840AB 18000192
	v_cndmask_b32_e32 v171, 0, v171, vcc                       // 00000000DACC: 01575680
	v_and_b32_e32 v171, v171, v170                             // 00000000DAD0: 275755AB
	v_accvgpr_write_b32 a146, v171                             // 00000000DAD4: D3D94092 180001AB
	s_mov_b32 s54, 0x8c                                        // 00000000DADC: BEB600FF 0000008C
	v_add_i32 v169, s54, v168                                  // 00000000DAE4: D29C00A9 00035036
	v_cmp_lt_i32_e64 vcc, v169, 4                              // 00000000DAEC: D0C1006A 000109A9
	v_min_u32_e32 v169, 4, v169                                // 00000000DAF4: 1D535284
	v_lshlrev_b32_e32 v169, 3, v169                            // 00000000DAF8: 25535283
	v_lshrrev_b32_e64 v170, v169, -1                           // 00000000DAFC: D11000AA 000183A9
	v_accvgpr_read_b32 v171, a131                              // 00000000DB04: D3D840AB 18000183
	v_cndmask_b32_e32 v171, 0, v171, vcc                       // 00000000DB0C: 01575680
	v_and_b32_e32 v171, v171, v170                             // 00000000DB10: 275755AB
	v_accvgpr_write_b32 a131, v171                             // 00000000DB14: D3D94083 180001AB
	v_accvgpr_read_b32 v171, a147                              // 00000000DB1C: D3D840AB 18000193
	v_cndmask_b32_e32 v171, 0, v171, vcc                       // 00000000DB24: 01575680
	v_and_b32_e32 v171, v171, v170                             // 00000000DB28: 275755AB
	v_accvgpr_write_b32 a147, v171                             // 00000000DB2C: D3D94093 180001AB
	s_mov_b32 s54, 0xc0                                        // 00000000DB34: BEB600FF 000000C0
	v_add_i32 v169, s54, v168                                  // 00000000DB3C: D29C00A9 00035036
	v_cmp_lt_i32_e64 vcc, v169, 4                              // 00000000DB44: D0C1006A 000109A9
	v_min_u32_e32 v169, 4, v169                                // 00000000DB4C: 1D535284
	v_lshlrev_b32_e32 v169, 3, v169                            // 00000000DB50: 25535283
	v_lshrrev_b32_e64 v170, v169, -1                           // 00000000DB54: D11000AA 000183A9
	v_accvgpr_read_b32 v171, a132                              // 00000000DB5C: D3D840AB 18000184
	v_cndmask_b32_e32 v171, 0, v171, vcc                       // 00000000DB64: 01575680
	v_and_b32_e32 v171, v171, v170                             // 00000000DB68: 275755AB
	v_accvgpr_write_b32 a132, v171                             // 00000000DB6C: D3D94084 180001AB
	v_accvgpr_read_b32 v171, a148                              // 00000000DB74: D3D840AB 18000194
	v_cndmask_b32_e32 v171, 0, v171, vcc                       // 00000000DB7C: 01575680
	v_and_b32_e32 v171, v171, v170                             // 00000000DB80: 275755AB
	v_accvgpr_write_b32 a148, v171                             // 00000000DB84: D3D94094 180001AB
	s_mov_b32 s54, 0xc4                                        // 00000000DB8C: BEB600FF 000000C4
	v_add_i32 v169, s54, v168                                  // 00000000DB94: D29C00A9 00035036
	v_cmp_lt_i32_e64 vcc, v169, 4                              // 00000000DB9C: D0C1006A 000109A9
	v_min_u32_e32 v169, 4, v169                                // 00000000DBA4: 1D535284
	v_lshlrev_b32_e32 v169, 3, v169                            // 00000000DBA8: 25535283
	v_lshrrev_b32_e64 v170, v169, -1                           // 00000000DBAC: D11000AA 000183A9
	v_accvgpr_read_b32 v171, a133                              // 00000000DBB4: D3D840AB 18000185
	v_cndmask_b32_e32 v171, 0, v171, vcc                       // 00000000DBBC: 01575680
	v_and_b32_e32 v171, v171, v170                             // 00000000DBC0: 275755AB
	v_accvgpr_write_b32 a133, v171                             // 00000000DBC4: D3D94085 180001AB
	v_accvgpr_read_b32 v171, a149                              // 00000000DBCC: D3D840AB 18000195
	v_cndmask_b32_e32 v171, 0, v171, vcc                       // 00000000DBD4: 01575680
	v_and_b32_e32 v171, v171, v170                             // 00000000DBD8: 275755AB
	v_accvgpr_write_b32 a149, v171                             // 00000000DBDC: D3D94095 180001AB
	s_mov_b32 s54, 0xc8                                        // 00000000DBE4: BEB600FF 000000C8
	v_add_i32 v169, s54, v168                                  // 00000000DBEC: D29C00A9 00035036
	v_cmp_lt_i32_e64 vcc, v169, 4                              // 00000000DBF4: D0C1006A 000109A9
	v_min_u32_e32 v169, 4, v169                                // 00000000DBFC: 1D535284
	v_lshlrev_b32_e32 v169, 3, v169                            // 00000000DC00: 25535283
	v_lshrrev_b32_e64 v170, v169, -1                           // 00000000DC04: D11000AA 000183A9
	v_accvgpr_read_b32 v171, a134                              // 00000000DC0C: D3D840AB 18000186
	v_cndmask_b32_e32 v171, 0, v171, vcc                       // 00000000DC14: 01575680
	v_and_b32_e32 v171, v171, v170                             // 00000000DC18: 275755AB
	v_accvgpr_write_b32 a134, v171                             // 00000000DC1C: D3D94086 180001AB
	v_accvgpr_read_b32 v171, a150                              // 00000000DC24: D3D840AB 18000196
	v_cndmask_b32_e32 v171, 0, v171, vcc                       // 00000000DC2C: 01575680
	v_and_b32_e32 v171, v171, v170                             // 00000000DC30: 275755AB
	v_accvgpr_write_b32 a150, v171                             // 00000000DC34: D3D94096 180001AB
	s_mov_b32 s54, 0xcc                                        // 00000000DC3C: BEB600FF 000000CC
	v_add_i32 v169, s54, v168                                  // 00000000DC44: D29C00A9 00035036
	v_cmp_lt_i32_e64 vcc, v169, 4                              // 00000000DC4C: D0C1006A 000109A9
	v_min_u32_e32 v169, 4, v169                                // 00000000DC54: 1D535284
	v_lshlrev_b32_e32 v169, 3, v169                            // 00000000DC58: 25535283
	v_lshrrev_b32_e64 v170, v169, -1                           // 00000000DC5C: D11000AA 000183A9
	v_accvgpr_read_b32 v171, a135                              // 00000000DC64: D3D840AB 18000187
	v_cndmask_b32_e32 v171, 0, v171, vcc                       // 00000000DC6C: 01575680
	v_and_b32_e32 v171, v171, v170                             // 00000000DC70: 275755AB
	v_accvgpr_write_b32 a135, v171                             // 00000000DC74: D3D94087 180001AB
	v_accvgpr_read_b32 v171, a151                              // 00000000DC7C: D3D840AB 18000197
	v_cndmask_b32_e32 v171, 0, v171, vcc                       // 00000000DC84: 01575680
	v_and_b32_e32 v171, v171, v170                             // 00000000DC88: 275755AB
	v_accvgpr_write_b32 a151, v171                             // 00000000DC8C: D3D94097 180001AB
	s_waitcnt lgkmcnt(11)                                      // 00000000DC94: BF8CCB7F
	v_mfma_f32_16x16x32_fp8_fp8 v[100:103], a[120:121], v[4:5], 0// 00000000DC98: D3F30064 0A020978
	v_mfma_f32_16x16x32_fp8_fp8 v[104:107], a[136:137], v[4:5], 0// 00000000DCA0: D3F30068 0A020988
	v_mfma_f32_16x16x32_fp8_fp8 v[100:103], a[122:123], v[6:7], v[100:103]// 00000000DCA8: D3F30064 0D920D7A
	buffer_load_dwordx4 a[88:91], v234, s[16:19], 0 offen      // 00000000DCB0: E05C1000 808458EA
	v_mfma_f32_16x16x32_fp8_fp8 v[104:107], a[138:139], v[6:7], v[104:107]// 00000000DCB8: D3F30068 0DA20D8A
	s_waitcnt lgkmcnt(10)                                      // 00000000DCC0: BF8CCA7F
	v_mfma_f32_16x16x32_fp8_fp8 v[100:103], a[124:125], v[8:9], v[100:103]// 00000000DCC4: D3F30064 0D92117C
	v_mfma_f32_16x16x32_fp8_fp8 v[104:107], a[140:141], v[8:9], v[104:107]// 00000000DCCC: D3F30068 0DA2118C
	v_mfma_f32_16x16x32_fp8_fp8 v[100:103], a[126:127], v[10:11], v[100:103]// 00000000DCD4: D3F30064 0D92157E
	buffer_load_dwordx4 a[92:95], v235, s[16:19], 0 offen      // 00000000DCDC: E05C1000 80845CEB
	v_mfma_f32_16x16x32_fp8_fp8 v[104:107], a[142:143], v[10:11], v[104:107]// 00000000DCE4: D3F30068 0DA2158E
	s_waitcnt lgkmcnt(9)                                       // 00000000DCEC: BF8CC97F
	v_mfma_f32_16x16x32_fp8_fp8 v[100:103], a[128:129], v[12:13], v[100:103]// 00000000DCF0: D3F30064 0D921980
	v_mfma_f32_16x16x32_fp8_fp8 v[104:107], a[144:145], v[12:13], v[104:107]// 00000000DCF8: D3F30068 0DA21990
	v_mfma_f32_16x16x32_fp8_fp8 v[100:103], a[130:131], v[14:15], v[100:103]// 00000000DD00: D3F30064 0D921D82
	buffer_load_dwordx4 a[96:99], v236, s[16:19], 0 offen      // 00000000DD08: E05C1000 808460EC
	v_mfma_f32_16x16x32_fp8_fp8 v[104:107], a[146:147], v[14:15], v[104:107]// 00000000DD10: D3F30068 0DA21D92
	s_waitcnt lgkmcnt(8)                                       // 00000000DD18: BF8CC87F
	v_mfma_f32_16x16x32_fp8_fp8 v[100:103], a[132:133], v[16:17], v[100:103]// 00000000DD1C: D3F30064 0D922184
	v_mfma_f32_16x16x32_fp8_fp8 v[104:107], a[148:149], v[16:17], v[104:107]// 00000000DD24: D3F30068 0DA22194
	v_mfma_f32_16x16x32_fp8_fp8 v[100:103], a[134:135], v[18:19], v[100:103]// 00000000DD2C: D3F30064 0D922586
	buffer_load_dwordx4 a[100:103], v237, s[16:19], 0 offen    // 00000000DD34: E05C1000 808464ED
	v_mfma_f32_16x16x32_fp8_fp8 v[104:107], a[150:151], v[18:19], v[104:107]// 00000000DD3C: D3F30068 0DA22596
	s_waitcnt lgkmcnt(7)                                       // 00000000DD44: BF8CC77F
	v_mfma_f32_16x16x32_fp8_fp8 v[108:111], a[120:121], v[20:21], 0// 00000000DD48: D3F3006C 0A022978
	v_mfma_f32_16x16x32_fp8_fp8 v[112:115], a[136:137], v[20:21], 0// 00000000DD50: D3F30070 0A022988
	v_mfma_f32_16x16x32_fp8_fp8 v[108:111], a[122:123], v[22:23], v[108:111]// 00000000DD58: D3F3006C 0DB22D7A
	buffer_load_dwordx4 a[104:107], v234, s[16:19], 0 offen offset:1024// 00000000DD60: E05C1400 808468EA
	v_mfma_f32_16x16x32_fp8_fp8 v[112:115], a[138:139], v[22:23], v[112:115]// 00000000DD68: D3F30070 0DC22D8A
	s_waitcnt lgkmcnt(6)                                       // 00000000DD70: BF8CC67F
	v_mfma_f32_16x16x32_fp8_fp8 v[108:111], a[124:125], v[24:25], v[108:111]// 00000000DD74: D3F3006C 0DB2317C
	v_mfma_f32_16x16x32_fp8_fp8 v[112:115], a[140:141], v[24:25], v[112:115]// 00000000DD7C: D3F30070 0DC2318C
	v_mfma_f32_16x16x32_fp8_fp8 v[108:111], a[126:127], v[26:27], v[108:111]// 00000000DD84: D3F3006C 0DB2357E
	buffer_load_dwordx4 a[108:111], v235, s[16:19], 0 offen offset:1024// 00000000DD8C: E05C1400 80846CEB
	v_mfma_f32_16x16x32_fp8_fp8 v[112:115], a[142:143], v[26:27], v[112:115]// 00000000DD94: D3F30070 0DC2358E
	s_waitcnt lgkmcnt(5)                                       // 00000000DD9C: BF8CC57F
	v_mfma_f32_16x16x32_fp8_fp8 v[108:111], a[128:129], v[28:29], v[108:111]// 00000000DDA0: D3F3006C 0DB23980
	v_mfma_f32_16x16x32_fp8_fp8 v[112:115], a[144:145], v[28:29], v[112:115]// 00000000DDA8: D3F30070 0DC23990
	v_mfma_f32_16x16x32_fp8_fp8 v[108:111], a[130:131], v[30:31], v[108:111]// 00000000DDB0: D3F3006C 0DB23D82
	buffer_load_dwordx4 a[112:115], v236, s[16:19], 0 offen offset:1024// 00000000DDB8: E05C1400 808470EC
	v_mfma_f32_16x16x32_fp8_fp8 v[112:115], a[146:147], v[30:31], v[112:115]// 00000000DDC0: D3F30070 0DC23D92
	s_waitcnt lgkmcnt(4)                                       // 00000000DDC8: BF8CC47F
	v_mfma_f32_16x16x32_fp8_fp8 v[108:111], a[132:133], v[32:33], v[108:111]// 00000000DDCC: D3F3006C 0DB24184
	v_mfma_f32_16x16x32_fp8_fp8 v[112:115], a[148:149], v[32:33], v[112:115]// 00000000DDD4: D3F30070 0DC24194
	v_mfma_f32_16x16x32_fp8_fp8 v[108:111], a[134:135], v[34:35], v[108:111]// 00000000DDDC: D3F3006C 0DB24586
	buffer_load_dwordx4 a[116:119], v237, s[16:19], 0 offen offset:1024// 00000000DDE4: E05C1400 808474ED
	v_mfma_f32_16x16x32_fp8_fp8 v[112:115], a[150:151], v[34:35], v[112:115]// 00000000DDEC: D3F30070 0DC24596
	s_waitcnt lgkmcnt(3)                                       // 00000000DDF4: BF8CC37F
	v_mfma_f32_16x16x32_fp8_fp8 v[116:119], a[120:121], v[36:37], 0// 00000000DDF8: D3F30074 0A024978
	v_mfma_f32_16x16x32_fp8_fp8 v[120:123], a[136:137], v[36:37], 0// 00000000DE00: D3F30078 0A024988
	v_mfma_f32_16x16x32_fp8_fp8 v[116:119], a[122:123], v[38:39], v[116:119]// 00000000DE08: D3F30074 0DD24D7A
	v_mfma_f32_16x16x32_fp8_fp8 v[120:123], a[138:139], v[38:39], v[120:123]// 00000000DE10: D3F30078 0DE24D8A
	s_waitcnt lgkmcnt(2)                                       // 00000000DE18: BF8CC27F
	v_mfma_f32_16x16x32_fp8_fp8 v[116:119], a[124:125], v[40:41], v[116:119]// 00000000DE1C: D3F30074 0DD2517C
	v_mfma_f32_16x16x32_fp8_fp8 v[120:123], a[140:141], v[40:41], v[120:123]// 00000000DE24: D3F30078 0DE2518C
	v_mfma_f32_16x16x32_fp8_fp8 v[116:119], a[126:127], v[42:43], v[116:119]// 00000000DE2C: D3F30074 0DD2557E
	v_mfma_f32_16x16x32_fp8_fp8 v[120:123], a[142:143], v[42:43], v[120:123]// 00000000DE34: D3F30078 0DE2558E
	s_waitcnt lgkmcnt(1)                                       // 00000000DE3C: BF8CC17F
	v_mfma_f32_16x16x32_fp8_fp8 v[116:119], a[128:129], v[44:45], v[116:119]// 00000000DE40: D3F30074 0DD25980
	v_mfma_f32_16x16x32_fp8_fp8 v[120:123], a[144:145], v[44:45], v[120:123]// 00000000DE48: D3F30078 0DE25990
	v_mfma_f32_16x16x32_fp8_fp8 v[116:119], a[130:131], v[46:47], v[116:119]// 00000000DE50: D3F30074 0DD25D82
	v_mfma_f32_16x16x32_fp8_fp8 v[120:123], a[146:147], v[46:47], v[120:123]// 00000000DE58: D3F30078 0DE25D92
	s_waitcnt lgkmcnt(0)                                       // 00000000DE60: BF8CC07F
	v_mfma_f32_16x16x32_fp8_fp8 v[116:119], a[132:133], v[48:49], v[116:119]// 00000000DE64: D3F30074 0DD26184
	v_mfma_f32_16x16x32_fp8_fp8 v[120:123], a[148:149], v[48:49], v[120:123]// 00000000DE6C: D3F30078 0DE26194
	v_mfma_f32_16x16x32_fp8_fp8 v[116:119], a[134:135], v[50:51], v[116:119]// 00000000DE74: D3F30074 0DD26586
	v_mfma_f32_16x16x32_fp8_fp8 v[120:123], a[150:151], v[50:51], v[120:123]// 00000000DE7C: D3F30078 0DE26596
	s_addk_i32 s64, 0x100                                      // 00000000DE84: B7400100

000000000000de88 <label_2E22>:
	s_cmp_lt_i32 s64, s62                                      // 00000000DE88: BF043E40
	s_cbranch_scc0 label_3B92                                  // 00000000DE8C: BF840D6E
	s_waitcnt vmcnt(10)                                        // 00000000DE90: BF8C0F7A
	v_mfma_f32_16x16x32_fp8_fp8 v[4:7], a[24:25], a[0:1], 0    // 00000000DE94: D3F30004 1A020118
	s_add_u32 s12, s86, s69                                    // 00000000DE9C: 800C4556
	s_addc_u32 s13, s87, 0                                     // 00000000DEA0: 820D8057
	v_mfma_f32_16x16x32_fp8_fp8 v[4:7], a[26:27], a[2:3], v[4:7]// 00000000DEA4: D3F30004 1C12051A
	s_add_u32 s16, s88, s70                                    // 00000000DEAC: 80104658
	s_addc_u32 s17, s89, 0                                     // 00000000DEB0: 82118059
	v_mfma_f32_16x16x32_fp8_fp8 v[4:7], a[28:29], a[4:5], v[4:7]// 00000000DEB4: D3F30004 1C12091C
	buffer_load_dwordx4 a[56:59], v232, s[12:15], 0 offen      // 00000000DEBC: E05C1000 808338E8
	v_mfma_f32_16x16x32_fp8_fp8 v[4:7], a[30:31], a[6:7], v[4:7]// 00000000DEC4: D3F30004 1C120D1E
	s_add_u32 s20, s90, s71                                    // 00000000DECC: 8014475A
	s_addc_u32 s21, s91, 0                                     // 00000000DED0: 8215805B
	v_mfma_f32_16x16x32_fp8_fp8 v[8:11], a[32:33], a[0:1], 0   // 00000000DED4: D3F30008 1A020120
	s_add_u32 s24, s92, s71                                    // 00000000DEDC: 8018475C
	s_addc_u32 s25, s93, 0                                     // 00000000DEE0: 8219805D
	v_mfma_f32_16x16x32_fp8_fp8 v[8:11], a[34:35], a[2:3], v[8:11]// 00000000DEE4: D3F30008 1C220522
	s_mul_i32 s69, s59, s50                                    // 00000000DEEC: 9245323B
	s_mul_i32 s71, s59, s66                                    // 00000000DEF0: 9247423B
	v_mfma_f32_16x16x32_fp8_fp8 v[8:11], a[36:37], a[4:5], v[8:11]// 00000000DEF4: D3F30008 1C220924
	buffer_load_dwordx4 a[60:63], v233, s[12:15], 0 offen      // 00000000DEFC: E05C1000 80833CE9
	v_mfma_f32_16x16x32_fp8_fp8 v[8:11], a[38:39], a[6:7], v[8:11]// 00000000DF04: D3F30008 1C220D26
	s_mul_i32 s54, s78, s51                                    // 00000000DF0C: 9236334E
	s_add_u32 s69, s69, s54                                    // 00000000DF10: 80453645
	v_mfma_f32_16x16x32_fp8_fp8 v[12:15], a[40:41], a[0:1], 0  // 00000000DF14: D3F3000C 1A020128
	s_mov_b32 s70, s69                                         // 00000000DF1C: BEC60045
	v_mfma_f32_16x16x32_fp8_fp8 v[12:15], a[42:43], a[2:3], v[12:15]// 00000000DF20: D3F3000C 1C32052A
	s_mul_i32 s54, s78, 4                                      // 00000000DF28: 9236844E
	s_add_u32 s71, s71, s54                                    // 00000000DF2C: 80473647
	v_mfma_f32_16x16x32_fp8_fp8 v[12:15], a[44:45], a[4:5], v[12:15]// 00000000DF30: D3F3000C 1C32092C
	buffer_load_dwordx4 a[64:67], v232, s[12:15], 0 offen offset:1024// 00000000DF38: E05C1400 808340E8
	v_mfma_f32_16x16x32_fp8_fp8 v[12:15], a[46:47], a[6:7], v[12:15]// 00000000DF40: D3F3000C 1C320D2E
	v_mfma_f32_16x16x32_fp8_fp8 v[16:19], a[48:49], a[0:1], 0  // 00000000DF48: D3F30010 1A020130
	v_mfma_f32_16x16x32_fp8_fp8 v[16:19], a[50:51], a[2:3], v[16:19]// 00000000DF50: D3F30010 1C420532
	v_mfma_f32_16x16x32_fp8_fp8 v[16:19], a[52:53], a[4:5], v[16:19]// 00000000DF58: D3F30010 1C420934
	buffer_load_dwordx4 a[68:71], v233, s[12:15], 0 offen offset:1024// 00000000DF60: E05C1400 808344E9
	v_mfma_f32_16x16x32_fp8_fp8 v[16:19], a[54:55], a[6:7], v[16:19]// 00000000DF68: D3F30010 1C420D36
	v_mfma_f32_16x16x32_fp8_fp8 v[20:23], a[24:25], a[8:9], 0  // 00000000DF70: D3F30014 1A021118
	v_mfma_f32_16x16x32_fp8_fp8 v[20:23], a[26:27], a[10:11], v[20:23]// 00000000DF78: D3F30014 1C52151A
	v_mfma_f32_16x16x32_fp8_fp8 v[20:23], a[28:29], a[12:13], v[20:23]// 00000000DF80: D3F30014 1C52191C
	buffer_load_dwordx4 a[72:75], v232, s[12:15], 0 offen offset:2048// 00000000DF88: E05C1800 808348E8
	v_mfma_f32_16x16x32_fp8_fp8 v[20:23], a[30:31], a[14:15], v[20:23]// 00000000DF90: D3F30014 1C521D1E
	v_mfma_f32_16x16x32_fp8_fp8 v[24:27], a[32:33], a[8:9], 0  // 00000000DF98: D3F30018 1A021120
	v_mfma_f32_16x16x32_fp8_fp8 v[24:27], a[34:35], a[10:11], v[24:27]// 00000000DFA0: D3F30018 1C621522
	v_mfma_f32_16x16x32_fp8_fp8 v[24:27], a[36:37], a[12:13], v[24:27]// 00000000DFA8: D3F30018 1C621924
	buffer_load_dwordx4 a[76:79], v233, s[12:15], 0 offen offset:2048// 00000000DFB0: E05C1800 80834CE9
	v_mfma_f32_16x16x32_fp8_fp8 v[24:27], a[38:39], a[14:15], v[24:27]// 00000000DFB8: D3F30018 1C621D26
	v_mfma_f32_16x16x32_fp8_fp8 v[28:31], a[40:41], a[8:9], 0  // 00000000DFC0: D3F3001C 1A021128
	v_mfma_f32_16x16x32_fp8_fp8 v[28:31], a[42:43], a[10:11], v[28:31]// 00000000DFC8: D3F3001C 1C72152A
	v_mfma_f32_16x16x32_fp8_fp8 v[28:31], a[44:45], a[12:13], v[28:31]// 00000000DFD0: D3F3001C 1C72192C
	buffer_load_dwordx4 a[80:83], v232, s[12:15], 0 offen offset:3072// 00000000DFD8: E05C1C00 808350E8
	v_mfma_f32_16x16x32_fp8_fp8 v[28:31], a[46:47], a[14:15], v[28:31]// 00000000DFE0: D3F3001C 1C721D2E
	v_mfma_f32_16x16x32_fp8_fp8 v[32:35], a[48:49], a[8:9], 0  // 00000000DFE8: D3F30020 1A021130
	v_mfma_f32_16x16x32_fp8_fp8 v[32:35], a[50:51], a[10:11], v[32:35]// 00000000DFF0: D3F30020 1C821532
	v_mfma_f32_16x16x32_fp8_fp8 v[32:35], a[52:53], a[12:13], v[32:35]// 00000000DFF8: D3F30020 1C821934
	buffer_load_dwordx4 a[84:87], v233, s[12:15], 0 offen offset:3072// 00000000E000: E05C1C00 808354E9
	v_mfma_f32_16x16x32_fp8_fp8 v[32:35], a[54:55], a[14:15], v[32:35]// 00000000E008: D3F30020 1C821D36
	v_mfma_f32_16x16x32_fp8_fp8 v[36:39], a[24:25], a[16:17], 0// 00000000E010: D3F30024 1A022118
	v_mfma_f32_16x16x32_fp8_fp8 v[36:39], a[26:27], a[18:19], v[36:39]// 00000000E018: D3F30024 1C92251A
	v_mfma_f32_16x16x32_fp8_fp8 v[36:39], a[28:29], a[20:21], v[36:39]// 00000000E020: D3F30024 1C92291C
	v_mfma_f32_16x16x32_fp8_fp8 v[36:39], a[30:31], a[22:23], v[36:39]// 00000000E028: D3F30024 1C922D1E
	v_mfma_f32_16x16x32_fp8_fp8 v[40:43], a[32:33], a[16:17], 0// 00000000E030: D3F30028 1A022120
	v_mfma_f32_16x16x32_fp8_fp8 v[40:43], a[34:35], a[18:19], v[40:43]// 00000000E038: D3F30028 1CA22522
	v_mfma_f32_16x16x32_fp8_fp8 v[40:43], a[36:37], a[20:21], v[40:43]// 00000000E040: D3F30028 1CA22924
	v_mfma_f32_16x16x32_fp8_fp8 v[40:43], a[38:39], a[22:23], v[40:43]// 00000000E048: D3F30028 1CA22D26
	v_mfma_f32_16x16x32_fp8_fp8 v[44:47], a[40:41], a[16:17], 0// 00000000E050: D3F3002C 1A022128
	v_mfma_f32_16x16x32_fp8_fp8 v[44:47], a[42:43], a[18:19], v[44:47]// 00000000E058: D3F3002C 1CB2252A
	v_mfma_f32_16x16x32_fp8_fp8 v[44:47], a[44:45], a[20:21], v[44:47]// 00000000E060: D3F3002C 1CB2292C
	v_mfma_f32_16x16x32_fp8_fp8 v[44:47], a[46:47], a[22:23], v[44:47]// 00000000E068: D3F3002C 1CB22D2E
	v_mfma_f32_16x16x32_fp8_fp8 v[48:51], a[48:49], a[16:17], 0// 00000000E070: D3F30030 1A022130
	v_mfma_f32_16x16x32_fp8_fp8 v[48:51], a[50:51], a[18:19], v[48:51]// 00000000E078: D3F30030 1CC22532
	v_mfma_f32_16x16x32_fp8_fp8 v[48:51], a[52:53], a[20:21], v[48:51]// 00000000E080: D3F30030 1CC22934
	v_mfma_f32_16x16x32_fp8_fp8 v[48:51], a[54:55], a[22:23], v[48:51]// 00000000E088: D3F30030 1CC22D36
	s_waitcnt vmcnt(16)                                        // 00000000E090: BF8C4F70
	v_or_b32_dpp v36, v44, v36 row_shr:8 row_mask:0xf bank_mask:0xf bound_ctrl:1// 00000000E094: 284848FA FF09182C
	v_or_b32_dpp v37, v45, v37 row_shr:8 row_mask:0xf bank_mask:0xf bound_ctrl:1// 00000000E09C: 284A4AFA FF09182D
	v_or_b32_dpp v38, v46, v38 row_shr:8 row_mask:0xf bank_mask:0xf bound_ctrl:1// 00000000E0A4: 284C4CFA FF09182E
	v_or_b32_dpp v39, v47, v39 row_shr:8 row_mask:0xf bank_mask:0xf bound_ctrl:1// 00000000E0AC: 284E4EFA FF09182F
	v_or_b32_dpp v40, v48, v40 row_shr:8 row_mask:0xf bank_mask:0xf bound_ctrl:1// 00000000E0B4: 285050FA FF091830
	v_or_b32_dpp v41, v49, v41 row_shr:8 row_mask:0xf bank_mask:0xf bound_ctrl:1// 00000000E0BC: 285252FA FF091831
	v_or_b32_dpp v42, v50, v42 row_shr:8 row_mask:0xf bank_mask:0xf bound_ctrl:1// 00000000E0C4: 285454FA FF091832
	v_or_b32_dpp v43, v51, v43 row_shr:8 row_mask:0xf bank_mask:0xf bound_ctrl:1// 00000000E0CC: 285656FA FF091833
	v_pk_mul_f32 v[4:5], v[148:149], v[4:5]                    // 00000000E0D4: D3B14004 18020994
	v_pk_mul_f32 v[6:7], v[148:149], v[6:7]                    // 00000000E0DC: D3B14006 18020D94
	v_pk_mul_f32 v[8:9], v[148:149], v[8:9]                    // 00000000E0E4: D3B14008 18021194
	v_pk_mul_f32 v[10:11], v[148:149], v[10:11]                // 00000000E0EC: D3B1400A 18021594
	v_pk_mul_f32 v[12:13], v[148:149], v[12:13]                // 00000000E0F4: D3B1400C 18021994
	v_pk_mul_f32 v[14:15], v[148:149], v[14:15]                // 00000000E0FC: D3B1400E 18021D94
	v_pk_mul_f32 v[16:17], v[148:149], v[16:17]                // 00000000E104: D3B14010 18022194
	v_pk_mul_f32 v[18:19], v[148:149], v[18:19]                // 00000000E10C: D3B14012 18022594
	v_mul_f32_e32 v4, v154, v4                                 // 00000000E114: 0A08099A
	v_mul_f32_e32 v5, v154, v5                                 // 00000000E118: 0A0A0B9A
	v_mul_f32_e32 v6, v154, v6                                 // 00000000E11C: 0A0C0D9A
	v_mul_f32_e32 v7, v154, v7                                 // 00000000E120: 0A0E0F9A
	v_mul_f32_e32 v8, v154, v8                                 // 00000000E124: 0A10119A
	v_mul_f32_e32 v9, v154, v9                                 // 00000000E128: 0A12139A
	v_mul_f32_e32 v10, v154, v10                               // 00000000E12C: 0A14159A
	v_mul_f32_e32 v11, v154, v11                               // 00000000E130: 0A16179A
	v_mul_f32_e32 v12, v154, v12                               // 00000000E134: 0A18199A
	v_mul_f32_e32 v13, v154, v13                               // 00000000E138: 0A1A1B9A
	v_mul_f32_e32 v14, v154, v14                               // 00000000E13C: 0A1C1D9A
	v_mul_f32_e32 v15, v154, v15                               // 00000000E140: 0A1E1F9A
	v_mul_f32_e32 v16, v154, v16                               // 00000000E144: 0A20219A
	v_mul_f32_e32 v17, v154, v17                               // 00000000E148: 0A22239A
	v_mul_f32_e32 v18, v154, v18                               // 00000000E14C: 0A24259A
	v_mul_f32_e32 v19, v154, v19                               // 00000000E150: 0A26279A
	v_pk_mul_f32 v[20:21], v[150:151], v[20:21]                // 00000000E154: D3B14014 18022996
	v_pk_mul_f32 v[22:23], v[150:151], v[22:23]                // 00000000E15C: D3B14016 18022D96
	v_pk_mul_f32 v[24:25], v[150:151], v[24:25]                // 00000000E164: D3B14018 18023196
	v_pk_mul_f32 v[26:27], v[150:151], v[26:27]                // 00000000E16C: D3B1401A 18023596
	v_pk_mul_f32 v[28:29], v[150:151], v[28:29]                // 00000000E174: D3B1401C 18023996
	v_pk_mul_f32 v[30:31], v[150:151], v[30:31]                // 00000000E17C: D3B1401E 18023D96
	v_pk_mul_f32 v[32:33], v[150:151], v[32:33]                // 00000000E184: D3B14020 18024196
	v_pk_mul_f32 v[34:35], v[150:151], v[34:35]                // 00000000E18C: D3B14022 18024596
	v_mul_f32_e32 v20, v154, v20                               // 00000000E194: 0A28299A
	v_mul_f32_e32 v21, v154, v21                               // 00000000E198: 0A2A2B9A
	v_mul_f32_e32 v22, v154, v22                               // 00000000E19C: 0A2C2D9A
	v_mul_f32_e32 v23, v154, v23                               // 00000000E1A0: 0A2E2F9A
	v_mul_f32_e32 v24, v154, v24                               // 00000000E1A4: 0A30319A
	v_mul_f32_e32 v25, v154, v25                               // 00000000E1A8: 0A32339A
	v_mul_f32_e32 v26, v154, v26                               // 00000000E1AC: 0A34359A
	v_mul_f32_e32 v27, v154, v27                               // 00000000E1B0: 0A36379A
	v_mul_f32_e32 v28, v154, v28                               // 00000000E1B4: 0A38399A
	v_mul_f32_e32 v29, v154, v29                               // 00000000E1B8: 0A3A3B9A
	v_mul_f32_e32 v30, v154, v30                               // 00000000E1BC: 0A3C3D9A
	v_mul_f32_e32 v31, v154, v31                               // 00000000E1C0: 0A3E3F9A
	v_mul_f32_e32 v32, v154, v32                               // 00000000E1C4: 0A40419A
	v_mul_f32_e32 v33, v154, v33                               // 00000000E1C8: 0A42439A
	v_mul_f32_e32 v34, v154, v34                               // 00000000E1CC: 0A44459A
	v_mul_f32_e32 v35, v154, v35                               // 00000000E1D0: 0A46479A
	v_pk_mul_f32 v[36:37], v[152:153], v[36:37]                // 00000000E1D4: D3B14024 18024998
	v_pk_mul_f32 v[38:39], v[152:153], v[38:39]                // 00000000E1DC: D3B14026 18024D98
	v_pk_mul_f32 v[40:41], v[152:153], v[40:41]                // 00000000E1E4: D3B14028 18025198
	v_pk_mul_f32 v[42:43], v[152:153], v[42:43]                // 00000000E1EC: D3B1402A 18025598
	v_mul_f32_e32 v36, v154, v36                               // 00000000E1F4: 0A48499A
	v_mul_f32_e32 v37, v154, v37                               // 00000000E1F8: 0A4A4B9A
	v_mul_f32_e32 v38, v154, v38                               // 00000000E1FC: 0A4C4D9A
	v_mul_f32_e32 v39, v154, v39                               // 00000000E200: 0A4E4F9A
	v_mul_f32_e32 v40, v154, v40                               // 00000000E204: 0A50519A
	v_mul_f32_e32 v41, v154, v41                               // 00000000E208: 0A52539A
	v_mul_f32_e32 v42, v154, v42                               // 00000000E20C: 0A54559A
	v_mul_f32_e32 v43, v154, v43                               // 00000000E210: 0A56579A
	v_add_u32_e32 v168, s64, v222                              // 00000000E214: 6951BC40
	v_add_u32_e32 v169, 0, v168                                // 00000000E218: 69535080
	v_cmp_lt_u32_e64 s[98:99], v169, v219                      // 00000000E21C: D0C90062 0003B7A9
	s_nop 0                                                    // 00000000E224: BF800000
	v_cndmask_b32_e64 v4, v225, v4, s[98:99]                   // 00000000E228: D1000004 018A09E1
	v_add_u32_e32 v169, 1, v168                                // 00000000E230: 69535081
	v_cmp_lt_u32_e64 s[98:99], v169, v219                      // 00000000E234: D0C90062 0003B7A9
	s_nop 0                                                    // 00000000E23C: BF800000
	v_cndmask_b32_e64 v5, v225, v5, s[98:99]                   // 00000000E240: D1000005 018A0BE1
	v_add_u32_e32 v169, 2, v168                                // 00000000E248: 69535082
	v_cmp_lt_u32_e64 s[98:99], v169, v219                      // 00000000E24C: D0C90062 0003B7A9
	s_nop 0                                                    // 00000000E254: BF800000
	v_cndmask_b32_e64 v6, v225, v6, s[98:99]                   // 00000000E258: D1000006 018A0DE1
	v_add_u32_e32 v169, 3, v168                                // 00000000E260: 69535083
	v_cmp_lt_u32_e64 s[98:99], v169, v219                      // 00000000E264: D0C90062 0003B7A9
	s_nop 0                                                    // 00000000E26C: BF800000
	v_cndmask_b32_e64 v7, v225, v7, s[98:99]                   // 00000000E270: D1000007 018A0FE1
	v_add_u32_e32 v169, 64, v168                               // 00000000E278: 695350C0
	v_cmp_lt_u32_e64 s[98:99], v169, v219                      // 00000000E27C: D0C90062 0003B7A9
	s_nop 0                                                    // 00000000E284: BF800000
	v_cndmask_b32_e64 v8, v225, v8, s[98:99]                   // 00000000E288: D1000008 018A11E1
	v_add_u32_e32 v169, 0x41, v168                             // 00000000E290: 695350FF 00000041
	v_cmp_lt_u32_e64 s[98:99], v169, v219                      // 00000000E298: D0C90062 0003B7A9
	s_nop 0                                                    // 00000000E2A0: BF800000
	v_cndmask_b32_e64 v9, v225, v9, s[98:99]                   // 00000000E2A4: D1000009 018A13E1
	v_add_u32_e32 v169, 0x42, v168                             // 00000000E2AC: 695350FF 00000042
	v_cmp_lt_u32_e64 s[98:99], v169, v219                      // 00000000E2B4: D0C90062 0003B7A9
	s_nop 0                                                    // 00000000E2BC: BF800000
	v_cndmask_b32_e64 v10, v225, v10, s[98:99]                 // 00000000E2C0: D100000A 018A15E1
	v_add_u32_e32 v169, 0x43, v168                             // 00000000E2C8: 695350FF 00000043
	v_cmp_lt_u32_e64 s[98:99], v169, v219                      // 00000000E2D0: D0C90062 0003B7A9
	s_nop 0                                                    // 00000000E2D8: BF800000
	v_cndmask_b32_e64 v11, v225, v11, s[98:99]                 // 00000000E2DC: D100000B 018A17E1
	v_add_u32_e32 v169, 0x80, v168                             // 00000000E2E4: 695350FF 00000080
	v_cmp_lt_u32_e64 s[98:99], v169, v219                      // 00000000E2EC: D0C90062 0003B7A9
	s_nop 0                                                    // 00000000E2F4: BF800000
	v_cndmask_b32_e64 v12, v225, v12, s[98:99]                 // 00000000E2F8: D100000C 018A19E1
	v_add_u32_e32 v169, 0x81, v168                             // 00000000E300: 695350FF 00000081
	v_cmp_lt_u32_e64 s[98:99], v169, v219                      // 00000000E308: D0C90062 0003B7A9
	s_nop 0                                                    // 00000000E310: BF800000
	v_cndmask_b32_e64 v13, v225, v13, s[98:99]                 // 00000000E314: D100000D 018A1BE1
	v_add_u32_e32 v169, 0x82, v168                             // 00000000E31C: 695350FF 00000082
	v_cmp_lt_u32_e64 s[98:99], v169, v219                      // 00000000E324: D0C90062 0003B7A9
	s_nop 0                                                    // 00000000E32C: BF800000
	v_cndmask_b32_e64 v14, v225, v14, s[98:99]                 // 00000000E330: D100000E 018A1DE1
	v_add_u32_e32 v169, 0x83, v168                             // 00000000E338: 695350FF 00000083
	v_cmp_lt_u32_e64 s[98:99], v169, v219                      // 00000000E340: D0C90062 0003B7A9
	s_nop 0                                                    // 00000000E348: BF800000
	v_cndmask_b32_e64 v15, v225, v15, s[98:99]                 // 00000000E34C: D100000F 018A1FE1
	v_add_u32_e32 v169, 0xc0, v168                             // 00000000E354: 695350FF 000000C0
	v_cmp_lt_u32_e64 s[98:99], v169, v219                      // 00000000E35C: D0C90062 0003B7A9
	s_nop 0                                                    // 00000000E364: BF800000
	v_cndmask_b32_e64 v16, v225, v16, s[98:99]                 // 00000000E368: D1000010 018A21E1
	v_add_u32_e32 v169, 0xc1, v168                             // 00000000E370: 695350FF 000000C1
	v_cmp_lt_u32_e64 s[98:99], v169, v219                      // 00000000E378: D0C90062 0003B7A9
	s_nop 0                                                    // 00000000E380: BF800000
	v_cndmask_b32_e64 v17, v225, v17, s[98:99]                 // 00000000E384: D1000011 018A23E1
	v_add_u32_e32 v169, 0xc2, v168                             // 00000000E38C: 695350FF 000000C2
	v_cmp_lt_u32_e64 s[98:99], v169, v219                      // 00000000E394: D0C90062 0003B7A9
	s_nop 0                                                    // 00000000E39C: BF800000
	v_cndmask_b32_e64 v18, v225, v18, s[98:99]                 // 00000000E3A0: D1000012 018A25E1
	v_add_u32_e32 v169, 0xc3, v168                             // 00000000E3A8: 695350FF 000000C3
	v_cmp_lt_u32_e64 s[98:99], v169, v219                      // 00000000E3B0: D0C90062 0003B7A9
	s_nop 0                                                    // 00000000E3B8: BF800000
	v_cndmask_b32_e64 v19, v225, v19, s[98:99]                 // 00000000E3BC: D1000013 018A27E1
	v_add_u32_e32 v169, 0, v168                                // 00000000E3C4: 69535080
	v_cmp_lt_u32_e64 s[98:99], v169, v220                      // 00000000E3C8: D0C90062 0003B9A9
	s_nop 0                                                    // 00000000E3D0: BF800000
	v_cndmask_b32_e64 v20, v225, v20, s[98:99]                 // 00000000E3D4: D1000014 018A29E1
	v_add_u32_e32 v169, 1, v168                                // 00000000E3DC: 69535081
	v_cmp_lt_u32_e64 s[98:99], v169, v220                      // 00000000E3E0: D0C90062 0003B9A9
	s_nop 0                                                    // 00000000E3E8: BF800000
	v_cndmask_b32_e64 v21, v225, v21, s[98:99]                 // 00000000E3EC: D1000015 018A2BE1
	v_add_u32_e32 v169, 2, v168                                // 00000000E3F4: 69535082
	v_cmp_lt_u32_e64 s[98:99], v169, v220                      // 00000000E3F8: D0C90062 0003B9A9
	s_nop 0                                                    // 00000000E400: BF800000
	v_cndmask_b32_e64 v22, v225, v22, s[98:99]                 // 00000000E404: D1000016 018A2DE1
	v_add_u32_e32 v169, 3, v168                                // 00000000E40C: 69535083
	v_cmp_lt_u32_e64 s[98:99], v169, v220                      // 00000000E410: D0C90062 0003B9A9
	s_nop 0                                                    // 00000000E418: BF800000
	v_cndmask_b32_e64 v23, v225, v23, s[98:99]                 // 00000000E41C: D1000017 018A2FE1
	v_add_u32_e32 v169, 64, v168                               // 00000000E424: 695350C0
	v_cmp_lt_u32_e64 s[98:99], v169, v220                      // 00000000E428: D0C90062 0003B9A9
	s_nop 0                                                    // 00000000E430: BF800000
	v_cndmask_b32_e64 v24, v225, v24, s[98:99]                 // 00000000E434: D1000018 018A31E1
	v_add_u32_e32 v169, 0x41, v168                             // 00000000E43C: 695350FF 00000041
	v_cmp_lt_u32_e64 s[98:99], v169, v220                      // 00000000E444: D0C90062 0003B9A9
	s_nop 0                                                    // 00000000E44C: BF800000
	v_cndmask_b32_e64 v25, v225, v25, s[98:99]                 // 00000000E450: D1000019 018A33E1
	v_add_u32_e32 v169, 0x42, v168                             // 00000000E458: 695350FF 00000042
	v_cmp_lt_u32_e64 s[98:99], v169, v220                      // 00000000E460: D0C90062 0003B9A9
	s_nop 0                                                    // 00000000E468: BF800000
	v_cndmask_b32_e64 v26, v225, v26, s[98:99]                 // 00000000E46C: D100001A 018A35E1
	v_add_u32_e32 v169, 0x43, v168                             // 00000000E474: 695350FF 00000043
	v_cmp_lt_u32_e64 s[98:99], v169, v220                      // 00000000E47C: D0C90062 0003B9A9
	s_nop 0                                                    // 00000000E484: BF800000
	v_cndmask_b32_e64 v27, v225, v27, s[98:99]                 // 00000000E488: D100001B 018A37E1
	v_add_u32_e32 v169, 0x80, v168                             // 00000000E490: 695350FF 00000080
	v_cmp_lt_u32_e64 s[98:99], v169, v220                      // 00000000E498: D0C90062 0003B9A9
	s_nop 0                                                    // 00000000E4A0: BF800000
	v_cndmask_b32_e64 v28, v225, v28, s[98:99]                 // 00000000E4A4: D100001C 018A39E1
	v_add_u32_e32 v169, 0x81, v168                             // 00000000E4AC: 695350FF 00000081
	v_cmp_lt_u32_e64 s[98:99], v169, v220                      // 00000000E4B4: D0C90062 0003B9A9
	s_nop 0                                                    // 00000000E4BC: BF800000
	v_cndmask_b32_e64 v29, v225, v29, s[98:99]                 // 00000000E4C0: D100001D 018A3BE1
	v_add_u32_e32 v169, 0x82, v168                             // 00000000E4C8: 695350FF 00000082
	v_cmp_lt_u32_e64 s[98:99], v169, v220                      // 00000000E4D0: D0C90062 0003B9A9
	s_nop 0                                                    // 00000000E4D8: BF800000
	v_cndmask_b32_e64 v30, v225, v30, s[98:99]                 // 00000000E4DC: D100001E 018A3DE1
	v_add_u32_e32 v169, 0x83, v168                             // 00000000E4E4: 695350FF 00000083
	v_cmp_lt_u32_e64 s[98:99], v169, v220                      // 00000000E4EC: D0C90062 0003B9A9
	s_nop 0                                                    // 00000000E4F4: BF800000
	v_cndmask_b32_e64 v31, v225, v31, s[98:99]                 // 00000000E4F8: D100001F 018A3FE1
	v_add_u32_e32 v169, 0xc0, v168                             // 00000000E500: 695350FF 000000C0
	v_cmp_lt_u32_e64 s[98:99], v169, v220                      // 00000000E508: D0C90062 0003B9A9
	s_nop 0                                                    // 00000000E510: BF800000
	v_cndmask_b32_e64 v32, v225, v32, s[98:99]                 // 00000000E514: D1000020 018A41E1
	v_add_u32_e32 v169, 0xc1, v168                             // 00000000E51C: 695350FF 000000C1
	v_cmp_lt_u32_e64 s[98:99], v169, v220                      // 00000000E524: D0C90062 0003B9A9
	s_nop 0                                                    // 00000000E52C: BF800000
	v_cndmask_b32_e64 v33, v225, v33, s[98:99]                 // 00000000E530: D1000021 018A43E1
	v_add_u32_e32 v169, 0xc2, v168                             // 00000000E538: 695350FF 000000C2
	v_cmp_lt_u32_e64 s[98:99], v169, v220                      // 00000000E540: D0C90062 0003B9A9
	s_nop 0                                                    // 00000000E548: BF800000
	v_cndmask_b32_e64 v34, v225, v34, s[98:99]                 // 00000000E54C: D1000022 018A45E1
	v_add_u32_e32 v169, 0xc3, v168                             // 00000000E554: 695350FF 000000C3
	v_cmp_lt_u32_e64 s[98:99], v169, v220                      // 00000000E55C: D0C90062 0003B9A9
	s_nop 0                                                    // 00000000E564: BF800000
	v_cndmask_b32_e64 v35, v225, v35, s[98:99]                 // 00000000E568: D1000023 018A47E1
	v_add_u32_e32 v168, s64, v223                              // 00000000E570: 6951BE40
	v_add_u32_e32 v169, 0, v168                                // 00000000E574: 69535080
	v_cmp_lt_u32_e64 s[98:99], v169, v221                      // 00000000E578: D0C90062 0003BBA9
	s_nop 0                                                    // 00000000E580: BF800000
	v_cndmask_b32_e64 v36, v225, v36, s[98:99]                 // 00000000E584: D1000024 018A49E1
	v_add_u32_e32 v169, 1, v168                                // 00000000E58C: 69535081
	v_cmp_lt_u32_e64 s[98:99], v169, v221                      // 00000000E590: D0C90062 0003BBA9
	s_nop 0                                                    // 00000000E598: BF800000
	v_cndmask_b32_e64 v37, v225, v37, s[98:99]                 // 00000000E59C: D1000025 018A4BE1
	v_add_u32_e32 v169, 2, v168                                // 00000000E5A4: 69535082
	v_cmp_lt_u32_e64 s[98:99], v169, v221                      // 00000000E5A8: D0C90062 0003BBA9
	s_nop 0                                                    // 00000000E5B0: BF800000
	v_cndmask_b32_e64 v38, v225, v38, s[98:99]                 // 00000000E5B4: D1000026 018A4DE1
	v_add_u32_e32 v169, 3, v168                                // 00000000E5BC: 69535083
	v_cmp_lt_u32_e64 s[98:99], v169, v221                      // 00000000E5C0: D0C90062 0003BBA9
	s_nop 0                                                    // 00000000E5C8: BF800000
	v_cndmask_b32_e64 v39, v225, v39, s[98:99]                 // 00000000E5CC: D1000027 018A4FE1
	v_add_u32_e32 v169, 64, v168                               // 00000000E5D4: 695350C0
	v_cmp_lt_u32_e64 s[98:99], v169, v221                      // 00000000E5D8: D0C90062 0003BBA9
	s_nop 0                                                    // 00000000E5E0: BF800000
	v_cndmask_b32_e64 v40, v225, v40, s[98:99]                 // 00000000E5E4: D1000028 018A51E1
	v_add_u32_e32 v169, 0x41, v168                             // 00000000E5EC: 695350FF 00000041
	v_cmp_lt_u32_e64 s[98:99], v169, v221                      // 00000000E5F4: D0C90062 0003BBA9
	s_nop 0                                                    // 00000000E5FC: BF800000
	v_cndmask_b32_e64 v41, v225, v41, s[98:99]                 // 00000000E600: D1000029 018A53E1
	v_add_u32_e32 v169, 0x42, v168                             // 00000000E608: 695350FF 00000042
	v_cmp_lt_u32_e64 s[98:99], v169, v221                      // 00000000E610: D0C90062 0003BBA9
	s_nop 0                                                    // 00000000E618: BF800000
	v_cndmask_b32_e64 v42, v225, v42, s[98:99]                 // 00000000E61C: D100002A 018A55E1
	v_add_u32_e32 v169, 0x43, v168                             // 00000000E624: 695350FF 00000043
	v_cmp_lt_u32_e64 s[98:99], v169, v221                      // 00000000E62C: D0C90062 0003BBA9
	s_nop 0                                                    // 00000000E634: BF800000
	v_cndmask_b32_e64 v43, v225, v43, s[98:99]                 // 00000000E638: D100002B 018A57E1
	v_mov_b32_e32 v190, v36                                    // 00000000E640: 7F7C0324
	v_max3_f32 v190, v36, v37, v190                            // 00000000E644: D1D300BE 06FA4B24
	v_max3_f32 v190, v38, v39, v190                            // 00000000E64C: D1D300BE 06FA4F26
	v_max3_f32 v190, v40, v41, v190                            // 00000000E654: D1D300BE 06FA5328
	v_max3_f32 v190, v42, v43, v190                            // 00000000E65C: D1D300BE 06FA572A
	v_mov_b32_e32 v189, v20                                    // 00000000E664: 7F7A0314
	v_max3_f32 v189, v20, v21, v189                            // 00000000E668: D1D300BD 06F62B14
	v_max3_f32 v189, v22, v23, v189                            // 00000000E670: D1D300BD 06F62F16
	v_max3_f32 v189, v24, v25, v189                            // 00000000E678: D1D300BD 06F63318
	v_max3_f32 v189, v26, v27, v189                            // 00000000E680: D1D300BD 06F6371A
	v_max3_f32 v189, v28, v29, v189                            // 00000000E688: D1D300BD 06F63B1C
	v_max3_f32 v189, v30, v31, v189                            // 00000000E690: D1D300BD 06F63F1E
	v_max3_f32 v189, v32, v33, v189                            // 00000000E698: D1D300BD 06F64320
	v_max3_f32 v189, v34, v35, v189                            // 00000000E6A0: D1D300BD 06F64722
	v_mov_b32_e32 v188, v4                                     // 00000000E6A8: 7F780304
	v_max3_f32 v188, v4, v5, v188                              // 00000000E6AC: D1D300BC 06F20B04
	v_max3_f32 v188, v6, v7, v188                              // 00000000E6B4: D1D300BC 06F20F06
	v_max3_f32 v188, v8, v9, v188                              // 00000000E6BC: D1D300BC 06F21308
	v_max3_f32 v188, v10, v11, v188                            // 00000000E6C4: D1D300BC 06F2170A
	v_max3_f32 v188, v12, v13, v188                            // 00000000E6CC: D1D300BC 06F21B0C
	v_max3_f32 v188, v14, v15, v188                            // 00000000E6D4: D1D300BC 06F21F0E
	v_max3_f32 v188, v16, v17, v188                            // 00000000E6DC: D1D300BC 06F22310
	v_max3_f32 v188, v18, v19, v188                            // 00000000E6E4: D1D300BC 06F22712
	v_max_f32_dpp v190, v190, v190 row_ror:8 row_mask:0xf bank_mask:0xf// 00000000E6EC: 177D7CFA FF0128BE
	ds_bpermute_b32 v172, v212, v188                           // 00000000E6F4: D87E0000 AC00BCD4
	ds_bpermute_b32 v173, v213, v188                           // 00000000E6FC: D87E0000 AD00BCD5
	ds_bpermute_b32 v174, v214, v188                           // 00000000E704: D87E0000 AE00BCD6
	ds_bpermute_b32 v175, v212, v189                           // 00000000E70C: D87E0000 AF00BDD4
	ds_bpermute_b32 v176, v213, v189                           // 00000000E714: D87E0000 B000BDD5
	ds_bpermute_b32 v177, v214, v189                           // 00000000E71C: D87E0000 B100BDD6
	ds_bpermute_b32 v178, v212, v190                           // 00000000E724: D87E0000 B200BED4
	ds_bpermute_b32 v179, v213, v190                           // 00000000E72C: D87E0000 B300BED5
	ds_bpermute_b32 v180, v214, v190                           // 00000000E734: D87E0000 B400BED6
	v_pk_mul_f32 v[124:125], v[200:201], v[124:125]            // 00000000E73C: D3B1407C 1802F9C8
	v_pk_mul_f32 v[126:127], v[200:201], v[126:127]            // 00000000E744: D3B1407E 1802FDC8
	v_pk_mul_f32 v[128:129], v[200:201], v[128:129]            // 00000000E74C: D3B14080 180301C8
	v_pk_mul_f32 v[130:131], v[200:201], v[130:131]            // 00000000E754: D3B14082 180305C8
	v_pk_mul_f32 v[132:133], v[202:203], v[132:133]            // 00000000E75C: D3B14084 180309CA
	v_pk_mul_f32 v[134:135], v[202:203], v[134:135]            // 00000000E764: D3B14086 18030DCA
	v_pk_mul_f32 v[136:137], v[202:203], v[136:137]            // 00000000E76C: D3B14088 180311CA
	v_pk_mul_f32 v[138:139], v[202:203], v[138:139]            // 00000000E774: D3B1408A 180315CA
	v_pk_mul_f32 v[140:141], v[204:205], v[140:141]            // 00000000E77C: D3B1408C 180319CC
	v_pk_mul_f32 v[142:143], v[204:205], v[142:143]            // 00000000E784: D3B1408E 18031DCC
	v_pk_mul_f32 v[144:145], v[204:205], v[144:145]            // 00000000E78C: D3B14090 180321CC
	v_pk_mul_f32 v[146:147], v[204:205], v[146:147]            // 00000000E794: D3B14092 180325CC
	s_waitcnt lgkmcnt(6)                                       // 00000000E79C: BF8CC67F
	v_max3_f32 v188, v172, v173, v188                          // 00000000E7A0: D1D300BC 06F35BAC
	v_max_f32_e32 v188, v174, v188                             // 00000000E7A8: 177979AE
	s_waitcnt lgkmcnt(3)                                       // 00000000E7AC: BF8CC37F
	v_max3_f32 v189, v175, v176, v189                          // 00000000E7B0: D1D300BD 06F761AF
	v_max_f32_e32 v189, v177, v189                             // 00000000E7B8: 177B7BB1
	s_waitcnt lgkmcnt(0)                                       // 00000000E7BC: BF8CC07F
	v_max3_f32 v190, v178, v179, v190                          // 00000000E7C0: D1D300BE 06FB67B2
	v_max_f32_e32 v190, v180, v190                             // 00000000E7C8: 177D7DB4
	ds_write_b128 v252, v[188:191]                             // 00000000E7CC: D9BE0000 0000BCFC
	s_waitcnt lgkmcnt(0)                                       // 00000000E7D4: BF8CC07F
	s_barrier                                                  // 00000000E7D8: BF8A0000
	ds_read_b128 v[172:175], v253                              // 00000000E7DC: D9FE0000 AC0000FD
	ds_read_b128 v[176:179], v253 offset:256                   // 00000000E7E4: D9FE0100 B00000FD
	ds_read_b128 v[180:183], v253 offset:512                   // 00000000E7EC: D9FE0200 B40000FD
	ds_read_b128 v[184:187], v253 offset:768                   // 00000000E7F4: D9FE0300 B80000FD
	v_pk_mul_f32 v[100:101], v[158:159], v[100:101]            // 00000000E7FC: D3B14064 1802C99E
	v_pk_mul_f32 v[102:103], v[158:159], v[102:103]            // 00000000E804: D3B14066 1802CD9E
	v_pk_mul_f32 v[104:105], v[158:159], v[104:105]            // 00000000E80C: D3B14068 1802D19E
	v_pk_mul_f32 v[106:107], v[158:159], v[106:107]            // 00000000E814: D3B1406A 1802D59E
	v_pk_mul_f32 v[108:109], v[160:161], v[108:109]            // 00000000E81C: D3B1406C 1802D9A0
	v_pk_mul_f32 v[110:111], v[160:161], v[110:111]            // 00000000E824: D3B1406E 1802DDA0
	v_pk_mul_f32 v[112:113], v[160:161], v[112:113]            // 00000000E82C: D3B14070 1802E1A0
	v_pk_mul_f32 v[114:115], v[160:161], v[114:115]            // 00000000E834: D3B14072 1802E5A0
	v_pk_mul_f32 v[116:117], v[162:163], v[116:117]            // 00000000E83C: D3B14074 1802E9A2
	v_pk_mul_f32 v[118:119], v[162:163], v[118:119]            // 00000000E844: D3B14076 1802EDA2
	v_pk_mul_f32 v[120:121], v[162:163], v[120:121]            // 00000000E84C: D3B14078 1802F1A2
	v_pk_mul_f32 v[122:123], v[162:163], v[122:123]            // 00000000E854: D3B1407A 1802F5A2
	s_waitcnt lgkmcnt(0)                                       // 00000000E85C: BF8CC07F
	v_max3_f32 v188, v172, v176, v188                          // 00000000E860: D1D300BC 06F361AC
	v_max3_f32 v189, v173, v177, v189                          // 00000000E868: D1D300BD 06F763AD
	v_max3_f32 v190, v174, v178, v190                          // 00000000E870: D1D300BE 06FB65AE
	v_max3_f32 v188, v180, v184, v188                          // 00000000E878: D1D300BC 06F371B4
	v_max3_f32 v189, v181, v185, v189                          // 00000000E880: D1D300BD 06F773B5
	v_max3_f32 v190, v182, v186, v190                          // 00000000E888: D1D300BE 06FB75B6
	v_max_f32_e32 v197, v188, v194                             // 00000000E890: 178B85BC
	v_mul_f32_e64 v168, -s46, v197                             // 00000000E894: D10500A8 20038A2E
	v_mov_b32_e32 v169, v168                                   // 00000000E89C: 7F5203A8
	v_pk_fma_f32 v[4:5], v[4:5], s[46:47], v[168:169]          // 00000000E8A0: D3B04004 1EA05D04
	v_pk_fma_f32 v[6:7], v[6:7], s[46:47], v[168:169]          // 00000000E8A8: D3B04006 1EA05D06
	v_exp_f32_e32 v4, v4                                       // 00000000E8B0: 7E084104
	v_exp_f32_e32 v5, v5                                       // 00000000E8B4: 7E0A4105
	v_exp_f32_e32 v6, v6                                       // 00000000E8B8: 7E0C4106
	v_exp_f32_e32 v7, v7                                       // 00000000E8BC: 7E0E4107
	v_pk_fma_f32 v[8:9], v[8:9], s[46:47], v[168:169]          // 00000000E8C0: D3B04008 1EA05D08
	v_pk_fma_f32 v[10:11], v[10:11], s[46:47], v[168:169]      // 00000000E8C8: D3B0400A 1EA05D0A
	v_exp_f32_e32 v8, v8                                       // 00000000E8D0: 7E104108
	v_exp_f32_e32 v9, v9                                       // 00000000E8D4: 7E124109
	v_exp_f32_e32 v10, v10                                     // 00000000E8D8: 7E14410A
	v_exp_f32_e32 v11, v11                                     // 00000000E8DC: 7E16410B
	v_pk_fma_f32 v[12:13], v[12:13], s[46:47], v[168:169]      // 00000000E8E0: D3B0400C 1EA05D0C
	v_pk_fma_f32 v[14:15], v[14:15], s[46:47], v[168:169]      // 00000000E8E8: D3B0400E 1EA05D0E
	v_exp_f32_e32 v12, v12                                     // 00000000E8F0: 7E18410C
	v_exp_f32_e32 v13, v13                                     // 00000000E8F4: 7E1A410D
	v_exp_f32_e32 v14, v14                                     // 00000000E8F8: 7E1C410E
	v_exp_f32_e32 v15, v15                                     // 00000000E8FC: 7E1E410F
	v_pk_fma_f32 v[16:17], v[16:17], s[46:47], v[168:169]      // 00000000E900: D3B04010 1EA05D10
	v_pk_fma_f32 v[18:19], v[18:19], s[46:47], v[168:169]      // 00000000E908: D3B04012 1EA05D12
	v_exp_f32_e32 v16, v16                                     // 00000000E910: 7E204110
	v_exp_f32_e32 v17, v17                                     // 00000000E914: 7E224111
	v_exp_f32_e32 v18, v18                                     // 00000000E918: 7E244112
	v_exp_f32_e32 v19, v19                                     // 00000000E91C: 7E264113
	v_max_f32_e32 v198, v189, v195                             // 00000000E920: 178D87BD
	v_mul_f32_e64 v168, -s46, v198                             // 00000000E924: D10500A8 20038C2E
	v_mov_b32_e32 v169, v168                                   // 00000000E92C: 7F5203A8
	v_pk_fma_f32 v[20:21], v[20:21], s[46:47], v[168:169]      // 00000000E930: D3B04014 1EA05D14
	v_pk_fma_f32 v[22:23], v[22:23], s[46:47], v[168:169]      // 00000000E938: D3B04016 1EA05D16
	v_exp_f32_e32 v20, v20                                     // 00000000E940: 7E284114
	v_exp_f32_e32 v21, v21                                     // 00000000E944: 7E2A4115
	v_exp_f32_e32 v22, v22                                     // 00000000E948: 7E2C4116
	v_exp_f32_e32 v23, v23                                     // 00000000E94C: 7E2E4117
	v_pk_fma_f32 v[24:25], v[24:25], s[46:47], v[168:169]      // 00000000E950: D3B04018 1EA05D18
	v_pk_fma_f32 v[26:27], v[26:27], s[46:47], v[168:169]      // 00000000E958: D3B0401A 1EA05D1A
	v_exp_f32_e32 v24, v24                                     // 00000000E960: 7E304118
	v_exp_f32_e32 v25, v25                                     // 00000000E964: 7E324119
	v_exp_f32_e32 v26, v26                                     // 00000000E968: 7E34411A
	v_exp_f32_e32 v27, v27                                     // 00000000E96C: 7E36411B
	v_pk_fma_f32 v[28:29], v[28:29], s[46:47], v[168:169]      // 00000000E970: D3B0401C 1EA05D1C
	v_pk_fma_f32 v[30:31], v[30:31], s[46:47], v[168:169]      // 00000000E978: D3B0401E 1EA05D1E
	v_exp_f32_e32 v28, v28                                     // 00000000E980: 7E38411C
	v_exp_f32_e32 v29, v29                                     // 00000000E984: 7E3A411D
	v_exp_f32_e32 v30, v30                                     // 00000000E988: 7E3C411E
	v_exp_f32_e32 v31, v31                                     // 00000000E98C: 7E3E411F
	v_pk_fma_f32 v[32:33], v[32:33], s[46:47], v[168:169]      // 00000000E990: D3B04020 1EA05D20
	v_pk_fma_f32 v[34:35], v[34:35], s[46:47], v[168:169]      // 00000000E998: D3B04022 1EA05D22
	v_exp_f32_e32 v32, v32                                     // 00000000E9A0: 7E404120
	v_exp_f32_e32 v33, v33                                     // 00000000E9A4: 7E424121
	v_exp_f32_e32 v34, v34                                     // 00000000E9A8: 7E444122
	v_exp_f32_e32 v35, v35                                     // 00000000E9AC: 7E464123
	v_max_f32_e32 v199, v190, v196                             // 00000000E9B0: 178F89BE
	v_mul_f32_e64 v168, -s46, v199                             // 00000000E9B4: D10500A8 20038E2E
	v_mov_b32_e32 v169, v168                                   // 00000000E9BC: 7F5203A8
	v_pk_fma_f32 v[36:37], v[36:37], s[46:47], v[168:169]      // 00000000E9C0: D3B04024 1EA05D24
	v_pk_fma_f32 v[38:39], v[38:39], s[46:47], v[168:169]      // 00000000E9C8: D3B04026 1EA05D26
	v_exp_f32_e32 v36, v36                                     // 00000000E9D0: 7E484124
	v_exp_f32_e32 v37, v37                                     // 00000000E9D4: 7E4A4125
	v_exp_f32_e32 v38, v38                                     // 00000000E9D8: 7E4C4126
	v_exp_f32_e32 v39, v39                                     // 00000000E9DC: 7E4E4127
	v_pk_fma_f32 v[40:41], v[40:41], s[46:47], v[168:169]      // 00000000E9E0: D3B04028 1EA05D28
	v_pk_fma_f32 v[42:43], v[42:43], s[46:47], v[168:169]      // 00000000E9E8: D3B0402A 1EA05D2A
	v_exp_f32_e32 v40, v40                                     // 00000000E9F0: 7E504128
	v_exp_f32_e32 v41, v41                                     // 00000000E9F4: 7E524129
	v_exp_f32_e32 v42, v42                                     // 00000000E9F8: 7E54412A
	v_exp_f32_e32 v43, v43                                     // 00000000E9FC: 7E56412B
	v_mul_f32_e32 v52, v156, v4                                // 00000000EA00: 0A68099C
	v_mul_f32_e32 v53, v156, v5                                // 00000000EA04: 0A6A0B9C
	v_mul_f32_e32 v54, v156, v6                                // 00000000EA08: 0A6C0D9C
	v_mul_f32_e32 v55, v156, v7                                // 00000000EA0C: 0A6E0F9C
	v_mul_f32_e32 v56, v156, v8                                // 00000000EA10: 0A70119C
	v_mul_f32_e32 v57, v156, v9                                // 00000000EA14: 0A72139C
	v_mul_f32_e32 v58, v156, v10                               // 00000000EA18: 0A74159C
	v_mul_f32_e32 v59, v156, v11                               // 00000000EA1C: 0A76179C
	v_mul_f32_e32 v60, v156, v12                               // 00000000EA20: 0A78199C
	v_mul_f32_e32 v61, v156, v13                               // 00000000EA24: 0A7A1B9C
	v_mul_f32_e32 v62, v156, v14                               // 00000000EA28: 0A7C1D9C
	v_mul_f32_e32 v63, v156, v15                               // 00000000EA2C: 0A7E1F9C
	v_mul_f32_e32 v64, v156, v16                               // 00000000EA30: 0A80219C
	v_mul_f32_e32 v65, v156, v17                               // 00000000EA34: 0A82239C
	v_mul_f32_e32 v66, v156, v18                               // 00000000EA38: 0A84259C
	v_mul_f32_e32 v67, v156, v19                               // 00000000EA3C: 0A86279C
	v_mul_f32_e32 v68, v156, v20                               // 00000000EA40: 0A88299C
	v_mul_f32_e32 v69, v156, v21                               // 00000000EA44: 0A8A2B9C
	v_mul_f32_e32 v70, v156, v22                               // 00000000EA48: 0A8C2D9C
	v_mul_f32_e32 v71, v156, v23                               // 00000000EA4C: 0A8E2F9C
	v_mul_f32_e32 v72, v156, v24                               // 00000000EA50: 0A90319C
	v_mul_f32_e32 v73, v156, v25                               // 00000000EA54: 0A92339C
	v_mul_f32_e32 v74, v156, v26                               // 00000000EA58: 0A94359C
	v_mul_f32_e32 v75, v156, v27                               // 00000000EA5C: 0A96379C
	v_mul_f32_e32 v76, v156, v28                               // 00000000EA60: 0A98399C
	v_mul_f32_e32 v77, v156, v29                               // 00000000EA64: 0A9A3B9C
	v_mul_f32_e32 v78, v156, v30                               // 00000000EA68: 0A9C3D9C
	v_mul_f32_e32 v79, v156, v31                               // 00000000EA6C: 0A9E3F9C
	v_mul_f32_e32 v80, v156, v32                               // 00000000EA70: 0AA0419C
	v_mul_f32_e32 v81, v156, v33                               // 00000000EA74: 0AA2439C
	v_mul_f32_e32 v82, v156, v34                               // 00000000EA78: 0AA4459C
	v_mul_f32_e32 v83, v156, v35                               // 00000000EA7C: 0AA6479C
	v_mul_f32_e32 v84, v156, v36                               // 00000000EA80: 0AA8499C
	v_mul_f32_e32 v85, v156, v37                               // 00000000EA84: 0AAA4B9C
	v_mul_f32_e32 v86, v156, v38                               // 00000000EA88: 0AAC4D9C
	v_mul_f32_e32 v87, v156, v39                               // 00000000EA8C: 0AAE4F9C
	v_mul_f32_e32 v88, v156, v40                               // 00000000EA90: 0AB0519C
	v_mul_f32_e32 v89, v156, v41                               // 00000000EA94: 0AB2539C
	v_mul_f32_e32 v90, v156, v42                               // 00000000EA98: 0AB4559C
	v_mul_f32_e32 v91, v156, v43                               // 00000000EA9C: 0AB6579C
	v_add_u32_e32 v168, s64, v222                              // 00000000EAA0: 6951BC40
	v_add_u32_e32 v169, 0, v168                                // 00000000EAA4: 69535080
	v_cmp_lt_u32_e32 vcc, v169, v219                           // 00000000EAA8: 7D93B7A9
	s_nop 0                                                    // 00000000EAAC: BF800000
	v_cndmask_b32_e32 v52, 0, v52, vcc                         // 00000000EAB0: 00686880
	v_add_u32_e32 v169, 1, v168                                // 00000000EAB4: 69535081
	v_cmp_lt_u32_e32 vcc, v169, v219                           // 00000000EAB8: 7D93B7A9
	s_nop 0                                                    // 00000000EABC: BF800000
	v_cndmask_b32_e32 v53, 0, v53, vcc                         // 00000000EAC0: 006A6A80
	v_add_u32_e32 v169, 2, v168                                // 00000000EAC4: 69535082
	v_cmp_lt_u32_e32 vcc, v169, v219                           // 00000000EAC8: 7D93B7A9
	s_nop 0                                                    // 00000000EACC: BF800000
	v_cndmask_b32_e32 v54, 0, v54, vcc                         // 00000000EAD0: 006C6C80
	v_add_u32_e32 v169, 3, v168                                // 00000000EAD4: 69535083
	v_cmp_lt_u32_e32 vcc, v169, v219                           // 00000000EAD8: 7D93B7A9
	s_nop 0                                                    // 00000000EADC: BF800000
	v_cndmask_b32_e32 v55, 0, v55, vcc                         // 00000000EAE0: 006E6E80
	v_add_u32_e32 v169, 64, v168                               // 00000000EAE4: 695350C0
	v_cmp_lt_u32_e32 vcc, v169, v219                           // 00000000EAE8: 7D93B7A9
	s_nop 0                                                    // 00000000EAEC: BF800000
	v_cndmask_b32_e32 v56, 0, v56, vcc                         // 00000000EAF0: 00707080
	v_add_u32_e32 v169, 0x41, v168                             // 00000000EAF4: 695350FF 00000041
	v_cmp_lt_u32_e32 vcc, v169, v219                           // 00000000EAFC: 7D93B7A9
	s_nop 0                                                    // 00000000EB00: BF800000
	v_cndmask_b32_e32 v57, 0, v57, vcc                         // 00000000EB04: 00727280
	v_add_u32_e32 v169, 0x42, v168                             // 00000000EB08: 695350FF 00000042
	v_cmp_lt_u32_e32 vcc, v169, v219                           // 00000000EB10: 7D93B7A9
	s_nop 0                                                    // 00000000EB14: BF800000
	v_cndmask_b32_e32 v58, 0, v58, vcc                         // 00000000EB18: 00747480
	v_add_u32_e32 v169, 0x43, v168                             // 00000000EB1C: 695350FF 00000043
	v_cmp_lt_u32_e32 vcc, v169, v219                           // 00000000EB24: 7D93B7A9
	s_nop 0                                                    // 00000000EB28: BF800000
	v_cndmask_b32_e32 v59, 0, v59, vcc                         // 00000000EB2C: 00767680
	v_add_u32_e32 v169, 0x80, v168                             // 00000000EB30: 695350FF 00000080
	v_cmp_lt_u32_e32 vcc, v169, v219                           // 00000000EB38: 7D93B7A9
	s_nop 0                                                    // 00000000EB3C: BF800000
	v_cndmask_b32_e32 v60, 0, v60, vcc                         // 00000000EB40: 00787880
	v_add_u32_e32 v169, 0x81, v168                             // 00000000EB44: 695350FF 00000081
	v_cmp_lt_u32_e32 vcc, v169, v219                           // 00000000EB4C: 7D93B7A9
	s_nop 0                                                    // 00000000EB50: BF800000
	v_cndmask_b32_e32 v61, 0, v61, vcc                         // 00000000EB54: 007A7A80
	v_add_u32_e32 v169, 0x82, v168                             // 00000000EB58: 695350FF 00000082
	v_cmp_lt_u32_e32 vcc, v169, v219                           // 00000000EB60: 7D93B7A9
	s_nop 0                                                    // 00000000EB64: BF800000
	v_cndmask_b32_e32 v62, 0, v62, vcc                         // 00000000EB68: 007C7C80
	v_add_u32_e32 v169, 0x83, v168                             // 00000000EB6C: 695350FF 00000083
	v_cmp_lt_u32_e32 vcc, v169, v219                           // 00000000EB74: 7D93B7A9
	s_nop 0                                                    // 00000000EB78: BF800000
	v_cndmask_b32_e32 v63, 0, v63, vcc                         // 00000000EB7C: 007E7E80
	v_add_u32_e32 v169, 0xc0, v168                             // 00000000EB80: 695350FF 000000C0
	v_cmp_lt_u32_e32 vcc, v169, v219                           // 00000000EB88: 7D93B7A9
	s_nop 0                                                    // 00000000EB8C: BF800000
	v_cndmask_b32_e32 v64, 0, v64, vcc                         // 00000000EB90: 00808080
	v_add_u32_e32 v169, 0xc1, v168                             // 00000000EB94: 695350FF 000000C1
	v_cmp_lt_u32_e32 vcc, v169, v219                           // 00000000EB9C: 7D93B7A9
	s_nop 0                                                    // 00000000EBA0: BF800000
	v_cndmask_b32_e32 v65, 0, v65, vcc                         // 00000000EBA4: 00828280
	v_add_u32_e32 v169, 0xc2, v168                             // 00000000EBA8: 695350FF 000000C2
	v_cmp_lt_u32_e32 vcc, v169, v219                           // 00000000EBB0: 7D93B7A9
	s_nop 0                                                    // 00000000EBB4: BF800000
	v_cndmask_b32_e32 v66, 0, v66, vcc                         // 00000000EBB8: 00848480
	v_add_u32_e32 v169, 0xc3, v168                             // 00000000EBBC: 695350FF 000000C3
	v_cmp_lt_u32_e32 vcc, v169, v219                           // 00000000EBC4: 7D93B7A9
	s_nop 0                                                    // 00000000EBC8: BF800000
	v_cndmask_b32_e32 v67, 0, v67, vcc                         // 00000000EBCC: 00868680
	v_add_u32_e32 v169, 0, v168                                // 00000000EBD0: 69535080
	v_cmp_lt_u32_e32 vcc, v169, v220                           // 00000000EBD4: 7D93B9A9
	s_nop 0                                                    // 00000000EBD8: BF800000
	v_cndmask_b32_e32 v68, 0, v68, vcc                         // 00000000EBDC: 00888880
	v_add_u32_e32 v169, 1, v168                                // 00000000EBE0: 69535081
	v_cmp_lt_u32_e32 vcc, v169, v220                           // 00000000EBE4: 7D93B9A9
	s_nop 0                                                    // 00000000EBE8: BF800000
	v_cndmask_b32_e32 v69, 0, v69, vcc                         // 00000000EBEC: 008A8A80
	v_add_u32_e32 v169, 2, v168                                // 00000000EBF0: 69535082
	v_cmp_lt_u32_e32 vcc, v169, v220                           // 00000000EBF4: 7D93B9A9
	s_nop 0                                                    // 00000000EBF8: BF800000
	v_cndmask_b32_e32 v70, 0, v70, vcc                         // 00000000EBFC: 008C8C80
	v_add_u32_e32 v169, 3, v168                                // 00000000EC00: 69535083
	v_cmp_lt_u32_e32 vcc, v169, v220                           // 00000000EC04: 7D93B9A9
	s_nop 0                                                    // 00000000EC08: BF800000
	v_cndmask_b32_e32 v71, 0, v71, vcc                         // 00000000EC0C: 008E8E80
	v_add_u32_e32 v169, 64, v168                               // 00000000EC10: 695350C0
	v_cmp_lt_u32_e32 vcc, v169, v220                           // 00000000EC14: 7D93B9A9
	s_nop 0                                                    // 00000000EC18: BF800000
	v_cndmask_b32_e32 v72, 0, v72, vcc                         // 00000000EC1C: 00909080
	v_add_u32_e32 v169, 0x41, v168                             // 00000000EC20: 695350FF 00000041
	v_cmp_lt_u32_e32 vcc, v169, v220                           // 00000000EC28: 7D93B9A9
	s_nop 0                                                    // 00000000EC2C: BF800000
	v_cndmask_b32_e32 v73, 0, v73, vcc                         // 00000000EC30: 00929280
	v_add_u32_e32 v169, 0x42, v168                             // 00000000EC34: 695350FF 00000042
	v_cmp_lt_u32_e32 vcc, v169, v220                           // 00000000EC3C: 7D93B9A9
	s_nop 0                                                    // 00000000EC40: BF800000
	v_cndmask_b32_e32 v74, 0, v74, vcc                         // 00000000EC44: 00949480
	v_add_u32_e32 v169, 0x43, v168                             // 00000000EC48: 695350FF 00000043
	v_cmp_lt_u32_e32 vcc, v169, v220                           // 00000000EC50: 7D93B9A9
	s_nop 0                                                    // 00000000EC54: BF800000
	v_cndmask_b32_e32 v75, 0, v75, vcc                         // 00000000EC58: 00969680
	v_add_u32_e32 v169, 0x80, v168                             // 00000000EC5C: 695350FF 00000080
	v_cmp_lt_u32_e32 vcc, v169, v220                           // 00000000EC64: 7D93B9A9
	s_nop 0                                                    // 00000000EC68: BF800000
	v_cndmask_b32_e32 v76, 0, v76, vcc                         // 00000000EC6C: 00989880
	v_add_u32_e32 v169, 0x81, v168                             // 00000000EC70: 695350FF 00000081
	v_cmp_lt_u32_e32 vcc, v169, v220                           // 00000000EC78: 7D93B9A9
	s_nop 0                                                    // 00000000EC7C: BF800000
	v_cndmask_b32_e32 v77, 0, v77, vcc                         // 00000000EC80: 009A9A80
	v_add_u32_e32 v169, 0x82, v168                             // 00000000EC84: 695350FF 00000082
	v_cmp_lt_u32_e32 vcc, v169, v220                           // 00000000EC8C: 7D93B9A9
	s_nop 0                                                    // 00000000EC90: BF800000
	v_cndmask_b32_e32 v78, 0, v78, vcc                         // 00000000EC94: 009C9C80
	v_add_u32_e32 v169, 0x83, v168                             // 00000000EC98: 695350FF 00000083
	v_cmp_lt_u32_e32 vcc, v169, v220                           // 00000000ECA0: 7D93B9A9
	s_nop 0                                                    // 00000000ECA4: BF800000
	v_cndmask_b32_e32 v79, 0, v79, vcc                         // 00000000ECA8: 009E9E80
	v_add_u32_e32 v169, 0xc0, v168                             // 00000000ECAC: 695350FF 000000C0
	v_cmp_lt_u32_e32 vcc, v169, v220                           // 00000000ECB4: 7D93B9A9
	s_nop 0                                                    // 00000000ECB8: BF800000
	v_cndmask_b32_e32 v80, 0, v80, vcc                         // 00000000ECBC: 00A0A080
	v_add_u32_e32 v169, 0xc1, v168                             // 00000000ECC0: 695350FF 000000C1
	v_cmp_lt_u32_e32 vcc, v169, v220                           // 00000000ECC8: 7D93B9A9
	s_nop 0                                                    // 00000000ECCC: BF800000
	v_cndmask_b32_e32 v81, 0, v81, vcc                         // 00000000ECD0: 00A2A280
	v_add_u32_e32 v169, 0xc2, v168                             // 00000000ECD4: 695350FF 000000C2
	v_cmp_lt_u32_e32 vcc, v169, v220                           // 00000000ECDC: 7D93B9A9
	s_nop 0                                                    // 00000000ECE0: BF800000
	v_cndmask_b32_e32 v82, 0, v82, vcc                         // 00000000ECE4: 00A4A480
	v_add_u32_e32 v169, 0xc3, v168                             // 00000000ECE8: 695350FF 000000C3
	v_cmp_lt_u32_e32 vcc, v169, v220                           // 00000000ECF0: 7D93B9A9
	s_nop 0                                                    // 00000000ECF4: BF800000
	v_cndmask_b32_e32 v83, 0, v83, vcc                         // 00000000ECF8: 00A6A680
	v_add_u32_e32 v168, s64, v223                              // 00000000ECFC: 6951BE40
	v_add_u32_e32 v169, 0, v168                                // 00000000ED00: 69535080
	v_cmp_lt_u32_e32 vcc, v169, v221                           // 00000000ED04: 7D93BBA9
	s_nop 0                                                    // 00000000ED08: BF800000
	v_cndmask_b32_e32 v84, 0, v84, vcc                         // 00000000ED0C: 00A8A880
	v_add_u32_e32 v169, 1, v168                                // 00000000ED10: 69535081
	v_cmp_lt_u32_e32 vcc, v169, v221                           // 00000000ED14: 7D93BBA9
	s_nop 0                                                    // 00000000ED18: BF800000
	v_cndmask_b32_e32 v85, 0, v85, vcc                         // 00000000ED1C: 00AAAA80
	v_add_u32_e32 v169, 2, v168                                // 00000000ED20: 69535082
	v_cmp_lt_u32_e32 vcc, v169, v221                           // 00000000ED24: 7D93BBA9
	s_nop 0                                                    // 00000000ED28: BF800000
	v_cndmask_b32_e32 v86, 0, v86, vcc                         // 00000000ED2C: 00ACAC80
	v_add_u32_e32 v169, 3, v168                                // 00000000ED30: 69535083
	v_cmp_lt_u32_e32 vcc, v169, v221                           // 00000000ED34: 7D93BBA9
	s_nop 0                                                    // 00000000ED38: BF800000
	v_cndmask_b32_e32 v87, 0, v87, vcc                         // 00000000ED3C: 00AEAE80
	v_add_u32_e32 v169, 64, v168                               // 00000000ED40: 695350C0
	v_cmp_lt_u32_e32 vcc, v169, v221                           // 00000000ED44: 7D93BBA9
	s_nop 0                                                    // 00000000ED48: BF800000
	v_cndmask_b32_e32 v88, 0, v88, vcc                         // 00000000ED4C: 00B0B080
	v_add_u32_e32 v169, 0x41, v168                             // 00000000ED50: 695350FF 00000041
	v_cmp_lt_u32_e32 vcc, v169, v221                           // 00000000ED58: 7D93BBA9
	s_nop 0                                                    // 00000000ED5C: BF800000
	v_cndmask_b32_e32 v89, 0, v89, vcc                         // 00000000ED60: 00B2B280
	v_add_u32_e32 v169, 0x42, v168                             // 00000000ED64: 695350FF 00000042
	v_cmp_lt_u32_e32 vcc, v169, v221                           // 00000000ED6C: 7D93BBA9
	s_nop 0                                                    // 00000000ED70: BF800000
	v_cndmask_b32_e32 v90, 0, v90, vcc                         // 00000000ED74: 00B4B480
	v_add_u32_e32 v169, 0x43, v168                             // 00000000ED78: 695350FF 00000043
	v_cmp_lt_u32_e32 vcc, v169, v221                           // 00000000ED80: 7D93BBA9
	s_nop 0                                                    // 00000000ED84: BF800000
	v_cndmask_b32_e32 v91, 0, v91, vcc                         // 00000000ED88: 00B6B680
	buffer_load_dword v155, v238, s[20:23], 0 offen            // 00000000ED8C: E0501000 80059BEE
	v_sub_f32_e32 v200, v194, v197                             // 00000000ED94: 05918BC2
	v_cmp_eq_u32_e64 s[98:99], v225, v194                      // 00000000ED98: D0CA0062 000385E1
	v_cndmask_b32_e64 v200, v200, 0, s[98:99]                  // 00000000EDA0: D10000C8 018901C8
	v_mov_b32_e32 v194, v197                                   // 00000000EDA8: 7F8403C5
	v_mul_f32_e32 v200, s46, v200                              // 00000000EDAC: 0B91902E
	v_exp_f32_e32 v200, v200                                   // 00000000EDB0: 7F9041C8
	v_sub_f32_e32 v202, v195, v198                             // 00000000EDB4: 05958DC3
	v_cmp_eq_u32_e64 s[98:99], v225, v195                      // 00000000EDB8: D0CA0062 000387E1
	v_cndmask_b32_e64 v202, v202, 0, s[98:99]                  // 00000000EDC0: D10000CA 018901CA
	v_mov_b32_e32 v195, v198                                   // 00000000EDC8: 7F8603C6
	v_mul_f32_e32 v202, s46, v202                              // 00000000EDCC: 0B95942E
	v_exp_f32_e32 v202, v202                                   // 00000000EDD0: 7F9441CA
	v_sub_f32_e32 v204, v196, v199                             // 00000000EDD4: 05998FC4
	v_cmp_eq_u32_e64 s[98:99], v225, v196                      // 00000000EDD8: D0CA0062 000389E1
	v_cndmask_b32_e64 v204, v204, 0, s[98:99]                  // 00000000EDE0: D10000CC 018901CC
	v_mov_b32_e32 v196, v199                                   // 00000000EDE8: 7F8803C7
	v_mul_f32_e32 v204, s46, v204                              // 00000000EDEC: 0B99982E
	v_exp_f32_e32 v204, v204                                   // 00000000EDF0: 7F9841CC
	v_mov_b32_e32 v201, v200                                   // 00000000EDF4: 7F9203C8
	v_mov_b32_e32 v203, v202                                   // 00000000EDF8: 7F9603CA
	v_mov_b32_e32 v205, v204                                   // 00000000EDFC: 7F9A03CC
	s_waitcnt lgkmcnt(0)                                       // 00000000EE00: BF8CC07F
	s_barrier                                                  // 00000000EE04: BF8A0000
	buffer_load_dword v157, v239, s[24:27], 0 offen            // 00000000EE08: E0501000 80069DEF
	v_mul_f32_e32 v206, v200, v206                             // 00000000EE10: 0B9D9DC8
	v_mov_b32_e32 v207, 0                                      // 00000000EE14: 7F9E0280
	v_pk_add_f32 v[206:207], v[4:5], v[206:207]                // 00000000EE18: D3B240CE 18039D04
	v_pk_add_f32 v[206:207], v[6:7], v[206:207]                // 00000000EE20: D3B240CE 18039D06
	v_pk_add_f32 v[206:207], v[8:9], v[206:207]                // 00000000EE28: D3B240CE 18039D08
	v_pk_add_f32 v[206:207], v[10:11], v[206:207]              // 00000000EE30: D3B240CE 18039D0A
	v_pk_add_f32 v[206:207], v[12:13], v[206:207]              // 00000000EE38: D3B240CE 18039D0C
	v_pk_add_f32 v[206:207], v[14:15], v[206:207]              // 00000000EE40: D3B240CE 18039D0E
	v_pk_add_f32 v[206:207], v[16:17], v[206:207]              // 00000000EE48: D3B240CE 18039D10
	v_pk_add_f32 v[206:207], v[18:19], v[206:207]              // 00000000EE50: D3B240CE 18039D12
	v_add_f32_e32 v206, v207, v206                             // 00000000EE58: 039D9DCF
	v_mul_f32_e32 v208, v202, v208                             // 00000000EE5C: 0BA1A1CA
	v_mov_b32_e32 v209, 0                                      // 00000000EE60: 7FA20280
	v_pk_add_f32 v[208:209], v[20:21], v[208:209]              // 00000000EE64: D3B240D0 1803A114
	v_pk_add_f32 v[208:209], v[22:23], v[208:209]              // 00000000EE6C: D3B240D0 1803A116
	v_pk_add_f32 v[208:209], v[24:25], v[208:209]              // 00000000EE74: D3B240D0 1803A118
	v_pk_add_f32 v[208:209], v[26:27], v[208:209]              // 00000000EE7C: D3B240D0 1803A11A
	v_pk_add_f32 v[208:209], v[28:29], v[208:209]              // 00000000EE84: D3B240D0 1803A11C
	v_pk_add_f32 v[208:209], v[30:31], v[208:209]              // 00000000EE8C: D3B240D0 1803A11E
	v_pk_add_f32 v[208:209], v[32:33], v[208:209]              // 00000000EE94: D3B240D0 1803A120
	v_pk_add_f32 v[208:209], v[34:35], v[208:209]              // 00000000EE9C: D3B240D0 1803A122
	v_add_f32_e32 v208, v209, v208                             // 00000000EEA4: 03A1A1D1
	v_mul_f32_e32 v210, v204, v210                             // 00000000EEA8: 0BA5A5CC
	v_mov_b32_e32 v211, 0                                      // 00000000EEAC: 7FA60280
	v_pk_add_f32 v[210:211], v[36:37], v[210:211]              // 00000000EEB0: D3B240D2 1803A524
	v_pk_add_f32 v[210:211], v[38:39], v[210:211]              // 00000000EEB8: D3B240D2 1803A526
	v_pk_add_f32 v[210:211], v[40:41], v[210:211]              // 00000000EEC0: D3B240D2 1803A528
	v_pk_add_f32 v[210:211], v[42:43], v[210:211]              // 00000000EEC8: D3B240D2 1803A52A
	v_add_f32_e32 v210, v211, v210                             // 00000000EED0: 03A5A5D3
	s_waitcnt lgkmcnt(0)                                       // 00000000EED4: BF8CC07F
	v_sub_f32_e32 v188, v188, v194                             // 00000000EED8: 057985BC
	v_sub_f32_e32 v189, v189, v195                             // 00000000EEDC: 057B87BD
	v_sub_f32_e32 v190, v190, v196                             // 00000000EEE0: 057D89BE
	v_mul_f32_e32 v188, s46, v188                              // 00000000EEE4: 0B79782E
	v_mul_f32_e32 v189, s46, v189                              // 00000000EEE8: 0B7B7A2E
	v_mul_f32_e32 v190, s46, v190                              // 00000000EEEC: 0B7D7C2E
	v_exp_f32_e32 v188, v188                                   // 00000000EEF0: 7F7841BC
	v_exp_f32_e32 v189, v189                                   // 00000000EEF4: 7F7A41BD
	v_exp_f32_e32 v190, v190                                   // 00000000EEF8: 7F7C41BE
	v_mul_f32_e32 v188, v156, v188                             // 00000000EEFC: 0B79799C
	v_mul_f32_e32 v189, v156, v189                             // 00000000EF00: 0B7B7B9C
	v_mul_f32_e32 v190, v156, v190                             // 00000000EF04: 0B7D7D9C
	v_add_f32_e32 v188, 0x3089705f, v188                       // 00000000EF08: 037978FF 3089705F
	v_add_f32_e32 v189, 0x3089705f, v189                       // 00000000EF10: 037B7AFF 3089705F
	v_add_f32_e32 v190, 0x3089705f, v190                       // 00000000EF18: 037D7CFF 3089705F
	v_rcp_f32_e32 v188, v188                                   // 00000000EF20: 7F7845BC
	v_rcp_f32_e32 v189, v189                                   // 00000000EF24: 7F7A45BD
	v_rcp_f32_e32 v190, v190                                   // 00000000EF28: 7F7C45BE
	v_mul_f32_e32 v188, 0x43700000, v188                       // 00000000EF2C: 0B7978FF 43700000
	v_mul_f32_e32 v189, 0x43700000, v189                       // 00000000EF34: 0B7B7AFF 43700000
	v_mul_f32_e32 v190, 0x43700000, v190                       // 00000000EF3C: 0B7D7CFF 43700000
	v_mov_b32_e32 v192, v190                                   // 00000000EF44: 7F8003BE
	v_mov_b32_e32 v193, v190                                   // 00000000EF48: 7F8203BE
	v_mov_b32_e32 v190, v189                                   // 00000000EF4C: 7F7C03BD
	v_mov_b32_e32 v191, v189                                   // 00000000EF50: 7F7E03BD
	v_mov_b32_e32 v189, v188                                   // 00000000EF54: 7F7A03BC
	v_pk_mul_f32 v[4:5], v[188:189], v[52:53]                  // 00000000EF58: D3B14004 180269BC
	v_pk_mul_f32 v[6:7], v[188:189], v[54:55]                  // 00000000EF60: D3B14006 18026DBC
	v_pk_mul_f32 v[8:9], v[188:189], v[56:57]                  // 00000000EF68: D3B14008 180271BC
	v_pk_mul_f32 v[10:11], v[188:189], v[58:59]                // 00000000EF70: D3B1400A 180275BC
	v_pk_mul_f32 v[12:13], v[188:189], v[60:61]                // 00000000EF78: D3B1400C 180279BC
	v_pk_mul_f32 v[14:15], v[188:189], v[62:63]                // 00000000EF80: D3B1400E 18027DBC
	v_pk_mul_f32 v[16:17], v[188:189], v[64:65]                // 00000000EF88: D3B14010 180281BC
	v_pk_mul_f32 v[18:19], v[188:189], v[66:67]                // 00000000EF90: D3B14012 180285BC
	v_pk_mul_f32 v[20:21], v[190:191], v[68:69]                // 00000000EF98: D3B14014 180289BE
	v_pk_mul_f32 v[22:23], v[190:191], v[70:71]                // 00000000EFA0: D3B14016 18028DBE
	v_pk_mul_f32 v[24:25], v[190:191], v[72:73]                // 00000000EFA8: D3B14018 180291BE
	v_pk_mul_f32 v[26:27], v[190:191], v[74:75]                // 00000000EFB0: D3B1401A 180295BE
	v_pk_mul_f32 v[28:29], v[190:191], v[76:77]                // 00000000EFB8: D3B1401C 180299BE
	v_pk_mul_f32 v[30:31], v[190:191], v[78:79]                // 00000000EFC0: D3B1401E 18029DBE
	v_pk_mul_f32 v[32:33], v[190:191], v[80:81]                // 00000000EFC8: D3B14020 1802A1BE
	v_pk_mul_f32 v[34:35], v[190:191], v[82:83]                // 00000000EFD0: D3B14022 1802A5BE
	v_pk_mul_f32 v[36:37], v[192:193], v[84:85]                // 00000000EFD8: D3B14024 1802A9C0
	v_pk_mul_f32 v[38:39], v[192:193], v[86:87]                // 00000000EFE0: D3B14026 1802ADC0
	v_pk_mul_f32 v[40:41], v[192:193], v[88:89]                // 00000000EFE8: D3B14028 1802B1C0
	v_pk_mul_f32 v[42:43], v[192:193], v[90:91]                // 00000000EFF0: D3B1402A 1802B5C0
	v_cvt_pk_fp8_f32 v4, v4, v5                                // 00000000EFF8: D2A20004 00020B04
	v_cvt_pk_fp8_f32 v4, v6, v7 op_sel:[0,0,1]                 // 00000000F000: D2A24004 00020F06
	v_cvt_pk_fp8_f32 v5, v8, v9                                // 00000000F008: D2A20005 00021308
	v_cvt_pk_fp8_f32 v5, v10, v11 op_sel:[0,0,1]               // 00000000F010: D2A24005 0002170A
	v_cvt_pk_fp8_f32 v6, v12, v13                              // 00000000F018: D2A20006 00021B0C
	v_cvt_pk_fp8_f32 v6, v14, v15 op_sel:[0,0,1]               // 00000000F020: D2A24006 00021F0E
	v_cvt_pk_fp8_f32 v7, v16, v17                              // 00000000F028: D2A20007 00022310
	v_cvt_pk_fp8_f32 v7, v18, v19 op_sel:[0,0,1]               // 00000000F030: D2A24007 00022712
	v_cvt_pk_fp8_f32 v8, v20, v21                              // 00000000F038: D2A20008 00022B14
	v_cvt_pk_fp8_f32 v8, v22, v23 op_sel:[0,0,1]               // 00000000F040: D2A24008 00022F16
	v_cvt_pk_fp8_f32 v9, v24, v25                              // 00000000F048: D2A20009 00023318
	v_cvt_pk_fp8_f32 v9, v26, v27 op_sel:[0,0,1]               // 00000000F050: D2A24009 0002371A
	v_cvt_pk_fp8_f32 v10, v28, v29                             // 00000000F058: D2A2000A 00023B1C
	v_cvt_pk_fp8_f32 v10, v30, v31 op_sel:[0,0,1]              // 00000000F060: D2A2400A 00023F1E
	v_cvt_pk_fp8_f32 v11, v32, v33                             // 00000000F068: D2A2000B 00024320
	v_cvt_pk_fp8_f32 v11, v34, v35 op_sel:[0,0,1]              // 00000000F070: D2A2400B 00024722
	v_cvt_pk_fp8_f32 v12, v36, v37                             // 00000000F078: D2A2000C 00024B24
	v_cvt_pk_fp8_f32 v12, v38, v39 op_sel:[0,0,1]              // 00000000F080: D2A2400C 00024F26
	v_cvt_pk_fp8_f32 v13, v40, v41                             // 00000000F088: D2A2000D 00025328
	v_cvt_pk_fp8_f32 v13, v42, v43 op_sel:[0,0,1]              // 00000000F090: D2A2400D 0002572A
	v_mov_b32_dpp v14, v12 row_shl:8 row_mask:0xf bank_mask:0xf bound_ctrl:1// 00000000F098: 7E1C02FA FF09080C
	v_and_b32_e32 v12, v12, v224                               // 00000000F0A0: 2619C10C
	v_mov_b32_dpp v15, v13 row_shl:8 row_mask:0xf bank_mask:0xf bound_ctrl:1// 00000000F0A4: 7E1E02FA FF09080D
	v_and_b32_e32 v13, v13, v224                               // 00000000F0AC: 261BC10D
	ds_write_b32 v254, v4 offset:8192                          // 00000000F0B0: D81A2000 000004FE
	ds_write_b32 v254, v5 offset:9216                          // 00000000F0B8: D81A2400 000005FE
	ds_write_b32 v254, v6 offset:10240                         // 00000000F0C0: D81A2800 000006FE
	ds_write_b32 v254, v7 offset:11264                         // 00000000F0C8: D81A2C00 000007FE
	ds_write_b32 v254, v8 offset:12288                         // 00000000F0D0: D81A3000 000008FE
	ds_write_b32 v254, v9 offset:13312                         // 00000000F0D8: D81A3400 000009FE
	ds_write_b32 v254, v10 offset:14336                        // 00000000F0E0: D81A3800 00000AFE
	ds_write_b32 v254, v11 offset:15360                        // 00000000F0E8: D81A3C00 00000BFE
	ds_write_b32 v254, v12 offset:16384                        // 00000000F0F0: D81A4000 00000CFE
	ds_write_b32 v254, v13 offset:17408                        // 00000000F0F8: D81A4400 00000DFE
	ds_write_b32 v254, v14 offset:18432                        // 00000000F100: D81A4800 00000EFE
	ds_write_b32 v254, v15 offset:19456                        // 00000000F108: D81A4C00 00000FFE
	v_rcp_f32_e32 v158, v188                                   // 00000000F110: 7F3C45BC
	v_rcp_f32_e32 v160, v190                                   // 00000000F114: 7F4045BE
	v_rcp_f32_e32 v162, v192                                   // 00000000F118: 7F4445C0
	v_mov_b32_e32 v159, v158                                   // 00000000F11C: 7F3E039E
	v_mov_b32_e32 v161, v160                                   // 00000000F120: 7F4203A0
	v_mov_b32_e32 v163, v162                                   // 00000000F124: 7F4603A2
	v_pk_add_f32 v[124:125], v[124:125], v[100:101]            // 00000000F128: D3B2407C 1802C97C
	v_pk_add_f32 v[126:127], v[126:127], v[102:103]            // 00000000F130: D3B2407E 1802CD7E
	v_pk_add_f32 v[128:129], v[128:129], v[104:105]            // 00000000F138: D3B24080 1802D180
	v_pk_add_f32 v[130:131], v[130:131], v[106:107]            // 00000000F140: D3B24082 1802D582
	v_pk_add_f32 v[132:133], v[132:133], v[108:109]            // 00000000F148: D3B24084 1802D984
	v_pk_add_f32 v[134:135], v[134:135], v[110:111]            // 00000000F150: D3B24086 1802DD86
	v_pk_add_f32 v[136:137], v[136:137], v[112:113]            // 00000000F158: D3B24088 1802E188
	v_pk_add_f32 v[138:139], v[138:139], v[114:115]            // 00000000F160: D3B2408A 1802E58A
	v_pk_add_f32 v[140:141], v[140:141], v[116:117]            // 00000000F168: D3B2408C 1802E98C
	v_pk_add_f32 v[142:143], v[142:143], v[118:119]            // 00000000F170: D3B2408E 1802ED8E
	v_pk_add_f32 v[144:145], v[144:145], v[120:121]            // 00000000F178: D3B24090 1802F190
	v_pk_add_f32 v[146:147], v[146:147], v[122:123]            // 00000000F180: D3B24092 1802F592
	s_waitcnt lgkmcnt(0)                                       // 00000000F188: BF8CC07F
	s_barrier                                                  // 00000000F18C: BF8A0000
	ds_read_b128 v[4:7], v255 offset:8192                      // 00000000F190: D9FE2000 040000FF
	ds_read_b128 v[8:11], v255 offset:9216                     // 00000000F198: D9FE2400 080000FF
	ds_read_b128 v[12:15], v255 offset:10240                   // 00000000F1A0: D9FE2800 0C0000FF
	ds_read_b128 v[16:19], v255 offset:11264                   // 00000000F1A8: D9FE2C00 100000FF
	ds_read_b128 v[20:23], v255 offset:12288                   // 00000000F1B0: D9FE3000 140000FF
	ds_read_b128 v[24:27], v255 offset:13312                   // 00000000F1B8: D9FE3400 180000FF
	ds_read_b128 v[28:31], v255 offset:14336                   // 00000000F1C0: D9FE3800 1C0000FF
	ds_read_b128 v[32:35], v255 offset:15360                   // 00000000F1C8: D9FE3C00 200000FF
	ds_read_b128 v[36:39], v255 offset:16384                   // 00000000F1D0: D9FE4000 240000FF
	ds_read_b128 v[40:43], v255 offset:17408                   // 00000000F1D8: D9FE4400 280000FF
	ds_read_b128 v[44:47], v255 offset:18432                   // 00000000F1E0: D9FE4800 2C0000FF
	ds_read_b128 v[48:51], v255 offset:19456                   // 00000000F1E8: D9FE4C00 300000FF
	s_waitcnt vmcnt(10)                                        // 00000000F1F0: BF8C0F7A
	v_lshrrev_b32_e32 v1, 4, v0                                // 00000000F1F4: 20020084
	v_lshlrev_b32_e32 v1, 4, v1                                // 00000000F1F8: 24020284
	v_add_u32_e32 v168, s64, v1                                // 00000000F1FC: 69500240
	v_add_u32_e32 v168, 4, v168                                // 00000000F200: 69515084
	v_sub_i32 v168, v168, s62                                  // 00000000F204: D29D00A8 00007DA8
	s_mov_b32 s54, 0                                           // 00000000F20C: BEB60080
	v_add_i32 v169, s54, v168                                  // 00000000F210: D29C00A9 00035036
	v_cmp_lt_i32_e64 vcc, v169, 4                              // 00000000F218: D0C1006A 000109A9
	v_min_u32_e32 v169, 4, v169                                // 00000000F220: 1D535284
	v_lshlrev_b32_e32 v169, 3, v169                            // 00000000F224: 25535283
	v_lshrrev_b32_e64 v170, v169, -1                           // 00000000F228: D11000AA 000183A9
	v_accvgpr_read_b32 v171, a88                               // 00000000F230: D3D840AB 18000158
	v_cndmask_b32_e32 v171, 0, v171, vcc                       // 00000000F238: 01575680
	v_and_b32_e32 v171, v171, v170                             // 00000000F23C: 275755AB
	v_accvgpr_write_b32 a88, v171                              // 00000000F240: D3D94058 180001AB
	v_accvgpr_read_b32 v171, a104                              // 00000000F248: D3D840AB 18000168
	v_cndmask_b32_e32 v171, 0, v171, vcc                       // 00000000F250: 01575680
	v_and_b32_e32 v171, v171, v170                             // 00000000F254: 275755AB
	v_accvgpr_write_b32 a104, v171                             // 00000000F258: D3D94068 180001AB
	s_mov_b32 s54, 4                                           // 00000000F260: BEB60084
	v_add_i32 v169, s54, v168                                  // 00000000F264: D29C00A9 00035036
	v_cmp_lt_i32_e64 vcc, v169, 4                              // 00000000F26C: D0C1006A 000109A9
	v_min_u32_e32 v169, 4, v169                                // 00000000F274: 1D535284
	v_lshlrev_b32_e32 v169, 3, v169                            // 00000000F278: 25535283
	v_lshrrev_b32_e64 v170, v169, -1                           // 00000000F27C: D11000AA 000183A9
	v_accvgpr_read_b32 v171, a89                               // 00000000F284: D3D840AB 18000159
	v_cndmask_b32_e32 v171, 0, v171, vcc                       // 00000000F28C: 01575680
	v_and_b32_e32 v171, v171, v170                             // 00000000F290: 275755AB
	v_accvgpr_write_b32 a89, v171                              // 00000000F294: D3D94059 180001AB
	v_accvgpr_read_b32 v171, a105                              // 00000000F29C: D3D840AB 18000169
	v_cndmask_b32_e32 v171, 0, v171, vcc                       // 00000000F2A4: 01575680
	v_and_b32_e32 v171, v171, v170                             // 00000000F2A8: 275755AB
	v_accvgpr_write_b32 a105, v171                             // 00000000F2AC: D3D94069 180001AB
	s_mov_b32 s54, 8                                           // 00000000F2B4: BEB60088
	v_add_i32 v169, s54, v168                                  // 00000000F2B8: D29C00A9 00035036
	v_cmp_lt_i32_e64 vcc, v169, 4                              // 00000000F2C0: D0C1006A 000109A9
	v_min_u32_e32 v169, 4, v169                                // 00000000F2C8: 1D535284
	v_lshlrev_b32_e32 v169, 3, v169                            // 00000000F2CC: 25535283
	v_lshrrev_b32_e64 v170, v169, -1                           // 00000000F2D0: D11000AA 000183A9
	v_accvgpr_read_b32 v171, a90                               // 00000000F2D8: D3D840AB 1800015A
	v_cndmask_b32_e32 v171, 0, v171, vcc                       // 00000000F2E0: 01575680
	v_and_b32_e32 v171, v171, v170                             // 00000000F2E4: 275755AB
	v_accvgpr_write_b32 a90, v171                              // 00000000F2E8: D3D9405A 180001AB
	v_accvgpr_read_b32 v171, a106                              // 00000000F2F0: D3D840AB 1800016A
	v_cndmask_b32_e32 v171, 0, v171, vcc                       // 00000000F2F8: 01575680
	v_and_b32_e32 v171, v171, v170                             // 00000000F2FC: 275755AB
	v_accvgpr_write_b32 a106, v171                             // 00000000F300: D3D9406A 180001AB
	s_mov_b32 s54, 12                                          // 00000000F308: BEB6008C
	v_add_i32 v169, s54, v168                                  // 00000000F30C: D29C00A9 00035036
	v_cmp_lt_i32_e64 vcc, v169, 4                              // 00000000F314: D0C1006A 000109A9
	v_min_u32_e32 v169, 4, v169                                // 00000000F31C: 1D535284
	v_lshlrev_b32_e32 v169, 3, v169                            // 00000000F320: 25535283
	v_lshrrev_b32_e64 v170, v169, -1                           // 00000000F324: D11000AA 000183A9
	v_accvgpr_read_b32 v171, a91                               // 00000000F32C: D3D840AB 1800015B
	v_cndmask_b32_e32 v171, 0, v171, vcc                       // 00000000F334: 01575680
	v_and_b32_e32 v171, v171, v170                             // 00000000F338: 275755AB
	v_accvgpr_write_b32 a91, v171                              // 00000000F33C: D3D9405B 180001AB
	v_accvgpr_read_b32 v171, a107                              // 00000000F344: D3D840AB 1800016B
	v_cndmask_b32_e32 v171, 0, v171, vcc                       // 00000000F34C: 01575680
	v_and_b32_e32 v171, v171, v170                             // 00000000F350: 275755AB
	v_accvgpr_write_b32 a107, v171                             // 00000000F354: D3D9406B 180001AB
	s_mov_b32 s54, 64                                          // 00000000F35C: BEB600C0
	v_add_i32 v169, s54, v168                                  // 00000000F360: D29C00A9 00035036
	v_cmp_lt_i32_e64 vcc, v169, 4                              // 00000000F368: D0C1006A 000109A9
	v_min_u32_e32 v169, 4, v169                                // 00000000F370: 1D535284
	v_lshlrev_b32_e32 v169, 3, v169                            // 00000000F374: 25535283
	v_lshrrev_b32_e64 v170, v169, -1                           // 00000000F378: D11000AA 000183A9
	v_accvgpr_read_b32 v171, a92                               // 00000000F380: D3D840AB 1800015C
	v_cndmask_b32_e32 v171, 0, v171, vcc                       // 00000000F388: 01575680
	v_and_b32_e32 v171, v171, v170                             // 00000000F38C: 275755AB
	v_accvgpr_write_b32 a92, v171                              // 00000000F390: D3D9405C 180001AB
	v_accvgpr_read_b32 v171, a108                              // 00000000F398: D3D840AB 1800016C
	v_cndmask_b32_e32 v171, 0, v171, vcc                       // 00000000F3A0: 01575680
	v_and_b32_e32 v171, v171, v170                             // 00000000F3A4: 275755AB
	v_accvgpr_write_b32 a108, v171                             // 00000000F3A8: D3D9406C 180001AB
	s_mov_b32 s54, 0x44                                        // 00000000F3B0: BEB600FF 00000044
	v_add_i32 v169, s54, v168                                  // 00000000F3B8: D29C00A9 00035036
	v_cmp_lt_i32_e64 vcc, v169, 4                              // 00000000F3C0: D0C1006A 000109A9
	v_min_u32_e32 v169, 4, v169                                // 00000000F3C8: 1D535284
	v_lshlrev_b32_e32 v169, 3, v169                            // 00000000F3CC: 25535283
	v_lshrrev_b32_e64 v170, v169, -1                           // 00000000F3D0: D11000AA 000183A9
	v_accvgpr_read_b32 v171, a93                               // 00000000F3D8: D3D840AB 1800015D
	v_cndmask_b32_e32 v171, 0, v171, vcc                       // 00000000F3E0: 01575680
	v_and_b32_e32 v171, v171, v170                             // 00000000F3E4: 275755AB
	v_accvgpr_write_b32 a93, v171                              // 00000000F3E8: D3D9405D 180001AB
	v_accvgpr_read_b32 v171, a109                              // 00000000F3F0: D3D840AB 1800016D
	v_cndmask_b32_e32 v171, 0, v171, vcc                       // 00000000F3F8: 01575680
	v_and_b32_e32 v171, v171, v170                             // 00000000F3FC: 275755AB
	v_accvgpr_write_b32 a109, v171                             // 00000000F400: D3D9406D 180001AB
	s_mov_b32 s54, 0x48                                        // 00000000F408: BEB600FF 00000048
	v_add_i32 v169, s54, v168                                  // 00000000F410: D29C00A9 00035036
	v_cmp_lt_i32_e64 vcc, v169, 4                              // 00000000F418: D0C1006A 000109A9
	v_min_u32_e32 v169, 4, v169                                // 00000000F420: 1D535284
	v_lshlrev_b32_e32 v169, 3, v169                            // 00000000F424: 25535283
	v_lshrrev_b32_e64 v170, v169, -1                           // 00000000F428: D11000AA 000183A9
	v_accvgpr_read_b32 v171, a94                               // 00000000F430: D3D840AB 1800015E
	v_cndmask_b32_e32 v171, 0, v171, vcc                       // 00000000F438: 01575680
	v_and_b32_e32 v171, v171, v170                             // 00000000F43C: 275755AB
	v_accvgpr_write_b32 a94, v171                              // 00000000F440: D3D9405E 180001AB
	v_accvgpr_read_b32 v171, a110                              // 00000000F448: D3D840AB 1800016E
	v_cndmask_b32_e32 v171, 0, v171, vcc                       // 00000000F450: 01575680
	v_and_b32_e32 v171, v171, v170                             // 00000000F454: 275755AB
	v_accvgpr_write_b32 a110, v171                             // 00000000F458: D3D9406E 180001AB
	s_mov_b32 s54, 0x4c                                        // 00000000F460: BEB600FF 0000004C
	v_add_i32 v169, s54, v168                                  // 00000000F468: D29C00A9 00035036
	v_cmp_lt_i32_e64 vcc, v169, 4                              // 00000000F470: D0C1006A 000109A9
	v_min_u32_e32 v169, 4, v169                                // 00000000F478: 1D535284
	v_lshlrev_b32_e32 v169, 3, v169                            // 00000000F47C: 25535283
	v_lshrrev_b32_e64 v170, v169, -1                           // 00000000F480: D11000AA 000183A9
	v_accvgpr_read_b32 v171, a95                               // 00000000F488: D3D840AB 1800015F
	v_cndmask_b32_e32 v171, 0, v171, vcc                       // 00000000F490: 01575680
	v_and_b32_e32 v171, v171, v170                             // 00000000F494: 275755AB
	v_accvgpr_write_b32 a95, v171                              // 00000000F498: D3D9405F 180001AB
	v_accvgpr_read_b32 v171, a111                              // 00000000F4A0: D3D840AB 1800016F
	v_cndmask_b32_e32 v171, 0, v171, vcc                       // 00000000F4A8: 01575680
	v_and_b32_e32 v171, v171, v170                             // 00000000F4AC: 275755AB
	v_accvgpr_write_b32 a111, v171                             // 00000000F4B0: D3D9406F 180001AB
	s_mov_b32 s54, 0x80                                        // 00000000F4B8: BEB600FF 00000080
	v_add_i32 v169, s54, v168                                  // 00000000F4C0: D29C00A9 00035036
	v_cmp_lt_i32_e64 vcc, v169, 4                              // 00000000F4C8: D0C1006A 000109A9
	v_min_u32_e32 v169, 4, v169                                // 00000000F4D0: 1D535284
	v_lshlrev_b32_e32 v169, 3, v169                            // 00000000F4D4: 25535283
	v_lshrrev_b32_e64 v170, v169, -1                           // 00000000F4D8: D11000AA 000183A9
	v_accvgpr_read_b32 v171, a96                               // 00000000F4E0: D3D840AB 18000160
	v_cndmask_b32_e32 v171, 0, v171, vcc                       // 00000000F4E8: 01575680
	v_and_b32_e32 v171, v171, v170                             // 00000000F4EC: 275755AB
	v_accvgpr_write_b32 a96, v171                              // 00000000F4F0: D3D94060 180001AB
	v_accvgpr_read_b32 v171, a112                              // 00000000F4F8: D3D840AB 18000170
	v_cndmask_b32_e32 v171, 0, v171, vcc                       // 00000000F500: 01575680
	v_and_b32_e32 v171, v171, v170                             // 00000000F504: 275755AB
	v_accvgpr_write_b32 a112, v171                             // 00000000F508: D3D94070 180001AB
	s_mov_b32 s54, 0x84                                        // 00000000F510: BEB600FF 00000084
	v_add_i32 v169, s54, v168                                  // 00000000F518: D29C00A9 00035036
	v_cmp_lt_i32_e64 vcc, v169, 4                              // 00000000F520: D0C1006A 000109A9
	v_min_u32_e32 v169, 4, v169                                // 00000000F528: 1D535284
	v_lshlrev_b32_e32 v169, 3, v169                            // 00000000F52C: 25535283
	v_lshrrev_b32_e64 v170, v169, -1                           // 00000000F530: D11000AA 000183A9
	v_accvgpr_read_b32 v171, a97                               // 00000000F538: D3D840AB 18000161
	v_cndmask_b32_e32 v171, 0, v171, vcc                       // 00000000F540: 01575680
	v_and_b32_e32 v171, v171, v170                             // 00000000F544: 275755AB
	v_accvgpr_write_b32 a97, v171                              // 00000000F548: D3D94061 180001AB
	v_accvgpr_read_b32 v171, a113                              // 00000000F550: D3D840AB 18000171
	v_cndmask_b32_e32 v171, 0, v171, vcc                       // 00000000F558: 01575680
	v_and_b32_e32 v171, v171, v170                             // 00000000F55C: 275755AB
	v_accvgpr_write_b32 a113, v171                             // 00000000F560: D3D94071 180001AB
	s_mov_b32 s54, 0x88                                        // 00000000F568: BEB600FF 00000088
	v_add_i32 v169, s54, v168                                  // 00000000F570: D29C00A9 00035036
	v_cmp_lt_i32_e64 vcc, v169, 4                              // 00000000F578: D0C1006A 000109A9
	v_min_u32_e32 v169, 4, v169                                // 00000000F580: 1D535284
	v_lshlrev_b32_e32 v169, 3, v169                            // 00000000F584: 25535283
	v_lshrrev_b32_e64 v170, v169, -1                           // 00000000F588: D11000AA 000183A9
	v_accvgpr_read_b32 v171, a98                               // 00000000F590: D3D840AB 18000162
	v_cndmask_b32_e32 v171, 0, v171, vcc                       // 00000000F598: 01575680
	v_and_b32_e32 v171, v171, v170                             // 00000000F59C: 275755AB
	v_accvgpr_write_b32 a98, v171                              // 00000000F5A0: D3D94062 180001AB
	v_accvgpr_read_b32 v171, a114                              // 00000000F5A8: D3D840AB 18000172
	v_cndmask_b32_e32 v171, 0, v171, vcc                       // 00000000F5B0: 01575680
	v_and_b32_e32 v171, v171, v170                             // 00000000F5B4: 275755AB
	v_accvgpr_write_b32 a114, v171                             // 00000000F5B8: D3D94072 180001AB
	s_mov_b32 s54, 0x8c                                        // 00000000F5C0: BEB600FF 0000008C
	v_add_i32 v169, s54, v168                                  // 00000000F5C8: D29C00A9 00035036
	v_cmp_lt_i32_e64 vcc, v169, 4                              // 00000000F5D0: D0C1006A 000109A9
	v_min_u32_e32 v169, 4, v169                                // 00000000F5D8: 1D535284
	v_lshlrev_b32_e32 v169, 3, v169                            // 00000000F5DC: 25535283
	v_lshrrev_b32_e64 v170, v169, -1                           // 00000000F5E0: D11000AA 000183A9
	v_accvgpr_read_b32 v171, a99                               // 00000000F5E8: D3D840AB 18000163
	v_cndmask_b32_e32 v171, 0, v171, vcc                       // 00000000F5F0: 01575680
	v_and_b32_e32 v171, v171, v170                             // 00000000F5F4: 275755AB
	v_accvgpr_write_b32 a99, v171                              // 00000000F5F8: D3D94063 180001AB
	v_accvgpr_read_b32 v171, a115                              // 00000000F600: D3D840AB 18000173
	v_cndmask_b32_e32 v171, 0, v171, vcc                       // 00000000F608: 01575680
	v_and_b32_e32 v171, v171, v170                             // 00000000F60C: 275755AB
	v_accvgpr_write_b32 a115, v171                             // 00000000F610: D3D94073 180001AB
	s_mov_b32 s54, 0xc0                                        // 00000000F618: BEB600FF 000000C0
	v_add_i32 v169, s54, v168                                  // 00000000F620: D29C00A9 00035036
	v_cmp_lt_i32_e64 vcc, v169, 4                              // 00000000F628: D0C1006A 000109A9
	v_min_u32_e32 v169, 4, v169                                // 00000000F630: 1D535284
	v_lshlrev_b32_e32 v169, 3, v169                            // 00000000F634: 25535283
	v_lshrrev_b32_e64 v170, v169, -1                           // 00000000F638: D11000AA 000183A9
	v_accvgpr_read_b32 v171, a100                              // 00000000F640: D3D840AB 18000164
	v_cndmask_b32_e32 v171, 0, v171, vcc                       // 00000000F648: 01575680
	v_and_b32_e32 v171, v171, v170                             // 00000000F64C: 275755AB
	v_accvgpr_write_b32 a100, v171                             // 00000000F650: D3D94064 180001AB
	v_accvgpr_read_b32 v171, a116                              // 00000000F658: D3D840AB 18000174
	v_cndmask_b32_e32 v171, 0, v171, vcc                       // 00000000F660: 01575680
	v_and_b32_e32 v171, v171, v170                             // 00000000F664: 275755AB
	v_accvgpr_write_b32 a116, v171                             // 00000000F668: D3D94074 180001AB
	s_mov_b32 s54, 0xc4                                        // 00000000F670: BEB600FF 000000C4
	v_add_i32 v169, s54, v168                                  // 00000000F678: D29C00A9 00035036
	v_cmp_lt_i32_e64 vcc, v169, 4                              // 00000000F680: D0C1006A 000109A9
	v_min_u32_e32 v169, 4, v169                                // 00000000F688: 1D535284
	v_lshlrev_b32_e32 v169, 3, v169                            // 00000000F68C: 25535283
	v_lshrrev_b32_e64 v170, v169, -1                           // 00000000F690: D11000AA 000183A9
	v_accvgpr_read_b32 v171, a101                              // 00000000F698: D3D840AB 18000165
	v_cndmask_b32_e32 v171, 0, v171, vcc                       // 00000000F6A0: 01575680
	v_and_b32_e32 v171, v171, v170                             // 00000000F6A4: 275755AB
	v_accvgpr_write_b32 a101, v171                             // 00000000F6A8: D3D94065 180001AB
	v_accvgpr_read_b32 v171, a117                              // 00000000F6B0: D3D840AB 18000175
	v_cndmask_b32_e32 v171, 0, v171, vcc                       // 00000000F6B8: 01575680
	v_and_b32_e32 v171, v171, v170                             // 00000000F6BC: 275755AB
	v_accvgpr_write_b32 a117, v171                             // 00000000F6C0: D3D94075 180001AB
	s_mov_b32 s54, 0xc8                                        // 00000000F6C8: BEB600FF 000000C8
	v_add_i32 v169, s54, v168                                  // 00000000F6D0: D29C00A9 00035036
	v_cmp_lt_i32_e64 vcc, v169, 4                              // 00000000F6D8: D0C1006A 000109A9
	v_min_u32_e32 v169, 4, v169                                // 00000000F6E0: 1D535284
	v_lshlrev_b32_e32 v169, 3, v169                            // 00000000F6E4: 25535283
	v_lshrrev_b32_e64 v170, v169, -1                           // 00000000F6E8: D11000AA 000183A9
	v_accvgpr_read_b32 v171, a102                              // 00000000F6F0: D3D840AB 18000166
	v_cndmask_b32_e32 v171, 0, v171, vcc                       // 00000000F6F8: 01575680
	v_and_b32_e32 v171, v171, v170                             // 00000000F6FC: 275755AB
	v_accvgpr_write_b32 a102, v171                             // 00000000F700: D3D94066 180001AB
	v_accvgpr_read_b32 v171, a118                              // 00000000F708: D3D840AB 18000176
	v_cndmask_b32_e32 v171, 0, v171, vcc                       // 00000000F710: 01575680
	v_and_b32_e32 v171, v171, v170                             // 00000000F714: 275755AB
	v_accvgpr_write_b32 a118, v171                             // 00000000F718: D3D94076 180001AB
	s_mov_b32 s54, 0xcc                                        // 00000000F720: BEB600FF 000000CC
	v_add_i32 v169, s54, v168                                  // 00000000F728: D29C00A9 00035036
	v_cmp_lt_i32_e64 vcc, v169, 4                              // 00000000F730: D0C1006A 000109A9
	v_min_u32_e32 v169, 4, v169                                // 00000000F738: 1D535284
	v_lshlrev_b32_e32 v169, 3, v169                            // 00000000F73C: 25535283
	v_lshrrev_b32_e64 v170, v169, -1                           // 00000000F740: D11000AA 000183A9
	v_accvgpr_read_b32 v171, a103                              // 00000000F748: D3D840AB 18000167
	v_cndmask_b32_e32 v171, 0, v171, vcc                       // 00000000F750: 01575680
	v_and_b32_e32 v171, v171, v170                             // 00000000F754: 275755AB
	v_accvgpr_write_b32 a103, v171                             // 00000000F758: D3D94067 180001AB
	v_accvgpr_read_b32 v171, a119                              // 00000000F760: D3D840AB 18000177
	v_cndmask_b32_e32 v171, 0, v171, vcc                       // 00000000F768: 01575680
	v_and_b32_e32 v171, v171, v170                             // 00000000F76C: 275755AB
	v_accvgpr_write_b32 a119, v171                             // 00000000F770: D3D94077 180001AB
	s_waitcnt lgkmcnt(11)                                      // 00000000F778: BF8CCB7F
	v_mfma_f32_16x16x32_fp8_fp8 v[100:103], a[88:89], v[4:5], 0// 00000000F77C: D3F30064 0A020958
	v_mfma_f32_16x16x32_fp8_fp8 v[104:107], a[104:105], v[4:5], 0// 00000000F784: D3F30068 0A020968
	v_mfma_f32_16x16x32_fp8_fp8 v[100:103], a[90:91], v[6:7], v[100:103]// 00000000F78C: D3F30064 0D920D5A
	buffer_load_dwordx4 a[120:123], v234, s[16:19], 0 offen    // 00000000F794: E05C1000 808478EA
	v_mfma_f32_16x16x32_fp8_fp8 v[104:107], a[106:107], v[6:7], v[104:107]// 00000000F79C: D3F30068 0DA20D6A
	s_waitcnt lgkmcnt(10)                                      // 00000000F7A4: BF8CCA7F
	v_mfma_f32_16x16x32_fp8_fp8 v[100:103], a[92:93], v[8:9], v[100:103]// 00000000F7A8: D3F30064 0D92115C
	v_mfma_f32_16x16x32_fp8_fp8 v[104:107], a[108:109], v[8:9], v[104:107]// 00000000F7B0: D3F30068 0DA2116C
	v_mfma_f32_16x16x32_fp8_fp8 v[100:103], a[94:95], v[10:11], v[100:103]// 00000000F7B8: D3F30064 0D92155E
	buffer_load_dwordx4 a[124:127], v235, s[16:19], 0 offen    // 00000000F7C0: E05C1000 80847CEB
	v_mfma_f32_16x16x32_fp8_fp8 v[104:107], a[110:111], v[10:11], v[104:107]// 00000000F7C8: D3F30068 0DA2156E
	s_waitcnt lgkmcnt(9)                                       // 00000000F7D0: BF8CC97F
	v_mfma_f32_16x16x32_fp8_fp8 v[100:103], a[96:97], v[12:13], v[100:103]// 00000000F7D4: D3F30064 0D921960
	v_mfma_f32_16x16x32_fp8_fp8 v[104:107], a[112:113], v[12:13], v[104:107]// 00000000F7DC: D3F30068 0DA21970
	v_mfma_f32_16x16x32_fp8_fp8 v[100:103], a[98:99], v[14:15], v[100:103]// 00000000F7E4: D3F30064 0D921D62
	buffer_load_dwordx4 a[128:131], v236, s[16:19], 0 offen    // 00000000F7EC: E05C1000 808480EC
	v_mfma_f32_16x16x32_fp8_fp8 v[104:107], a[114:115], v[14:15], v[104:107]// 00000000F7F4: D3F30068 0DA21D72
	s_waitcnt lgkmcnt(8)                                       // 00000000F7FC: BF8CC87F
	v_mfma_f32_16x16x32_fp8_fp8 v[100:103], a[100:101], v[16:17], v[100:103]// 00000000F800: D3F30064 0D922164
	v_mfma_f32_16x16x32_fp8_fp8 v[104:107], a[116:117], v[16:17], v[104:107]// 00000000F808: D3F30068 0DA22174
	v_mfma_f32_16x16x32_fp8_fp8 v[100:103], a[102:103], v[18:19], v[100:103]// 00000000F810: D3F30064 0D922566
	buffer_load_dwordx4 a[132:135], v237, s[16:19], 0 offen    // 00000000F818: E05C1000 808484ED
	v_mfma_f32_16x16x32_fp8_fp8 v[104:107], a[118:119], v[18:19], v[104:107]// 00000000F820: D3F30068 0DA22576
	s_waitcnt lgkmcnt(7)                                       // 00000000F828: BF8CC77F
	v_mfma_f32_16x16x32_fp8_fp8 v[108:111], a[88:89], v[20:21], 0// 00000000F82C: D3F3006C 0A022958
	v_mfma_f32_16x16x32_fp8_fp8 v[112:115], a[104:105], v[20:21], 0// 00000000F834: D3F30070 0A022968
	v_mfma_f32_16x16x32_fp8_fp8 v[108:111], a[90:91], v[22:23], v[108:111]// 00000000F83C: D3F3006C 0DB22D5A
	buffer_load_dwordx4 a[136:139], v234, s[16:19], 0 offen offset:1024// 00000000F844: E05C1400 808488EA
	v_mfma_f32_16x16x32_fp8_fp8 v[112:115], a[106:107], v[22:23], v[112:115]// 00000000F84C: D3F30070 0DC22D6A
	s_waitcnt lgkmcnt(6)                                       // 00000000F854: BF8CC67F
	v_mfma_f32_16x16x32_fp8_fp8 v[108:111], a[92:93], v[24:25], v[108:111]// 00000000F858: D3F3006C 0DB2315C
	v_mfma_f32_16x16x32_fp8_fp8 v[112:115], a[108:109], v[24:25], v[112:115]// 00000000F860: D3F30070 0DC2316C
	v_mfma_f32_16x16x32_fp8_fp8 v[108:111], a[94:95], v[26:27], v[108:111]// 00000000F868: D3F3006C 0DB2355E
	buffer_load_dwordx4 a[140:143], v235, s[16:19], 0 offen offset:1024// 00000000F870: E05C1400 80848CEB
	v_mfma_f32_16x16x32_fp8_fp8 v[112:115], a[110:111], v[26:27], v[112:115]// 00000000F878: D3F30070 0DC2356E
	s_waitcnt lgkmcnt(5)                                       // 00000000F880: BF8CC57F
	v_mfma_f32_16x16x32_fp8_fp8 v[108:111], a[96:97], v[28:29], v[108:111]// 00000000F884: D3F3006C 0DB23960
	v_mfma_f32_16x16x32_fp8_fp8 v[112:115], a[112:113], v[28:29], v[112:115]// 00000000F88C: D3F30070 0DC23970
	v_mfma_f32_16x16x32_fp8_fp8 v[108:111], a[98:99], v[30:31], v[108:111]// 00000000F894: D3F3006C 0DB23D62
	buffer_load_dwordx4 a[144:147], v236, s[16:19], 0 offen offset:1024// 00000000F89C: E05C1400 808490EC
	v_mfma_f32_16x16x32_fp8_fp8 v[112:115], a[114:115], v[30:31], v[112:115]// 00000000F8A4: D3F30070 0DC23D72
	s_waitcnt lgkmcnt(4)                                       // 00000000F8AC: BF8CC47F
	v_mfma_f32_16x16x32_fp8_fp8 v[108:111], a[100:101], v[32:33], v[108:111]// 00000000F8B0: D3F3006C 0DB24164
	v_mfma_f32_16x16x32_fp8_fp8 v[112:115], a[116:117], v[32:33], v[112:115]// 00000000F8B8: D3F30070 0DC24174
	v_mfma_f32_16x16x32_fp8_fp8 v[108:111], a[102:103], v[34:35], v[108:111]// 00000000F8C0: D3F3006C 0DB24566
	buffer_load_dwordx4 a[148:151], v237, s[16:19], 0 offen offset:1024// 00000000F8C8: E05C1400 808494ED
	v_mfma_f32_16x16x32_fp8_fp8 v[112:115], a[118:119], v[34:35], v[112:115]// 00000000F8D0: D3F30070 0DC24576
	s_waitcnt lgkmcnt(3)                                       // 00000000F8D8: BF8CC37F
	v_mfma_f32_16x16x32_fp8_fp8 v[116:119], a[88:89], v[36:37], 0// 00000000F8DC: D3F30074 0A024958
	v_mfma_f32_16x16x32_fp8_fp8 v[120:123], a[104:105], v[36:37], 0// 00000000F8E4: D3F30078 0A024968
	v_mfma_f32_16x16x32_fp8_fp8 v[116:119], a[90:91], v[38:39], v[116:119]// 00000000F8EC: D3F30074 0DD24D5A
	v_mfma_f32_16x16x32_fp8_fp8 v[120:123], a[106:107], v[38:39], v[120:123]// 00000000F8F4: D3F30078 0DE24D6A
	s_waitcnt lgkmcnt(2)                                       // 00000000F8FC: BF8CC27F
	v_mfma_f32_16x16x32_fp8_fp8 v[116:119], a[92:93], v[40:41], v[116:119]// 00000000F900: D3F30074 0DD2515C
	v_mfma_f32_16x16x32_fp8_fp8 v[120:123], a[108:109], v[40:41], v[120:123]// 00000000F908: D3F30078 0DE2516C
	v_mfma_f32_16x16x32_fp8_fp8 v[116:119], a[94:95], v[42:43], v[116:119]// 00000000F910: D3F30074 0DD2555E
	v_mfma_f32_16x16x32_fp8_fp8 v[120:123], a[110:111], v[42:43], v[120:123]// 00000000F918: D3F30078 0DE2556E
	s_waitcnt lgkmcnt(1)                                       // 00000000F920: BF8CC17F
	v_mfma_f32_16x16x32_fp8_fp8 v[116:119], a[96:97], v[44:45], v[116:119]// 00000000F924: D3F30074 0DD25960
	v_mfma_f32_16x16x32_fp8_fp8 v[120:123], a[112:113], v[44:45], v[120:123]// 00000000F92C: D3F30078 0DE25970
	v_mfma_f32_16x16x32_fp8_fp8 v[116:119], a[98:99], v[46:47], v[116:119]// 00000000F934: D3F30074 0DD25D62
	v_mfma_f32_16x16x32_fp8_fp8 v[120:123], a[114:115], v[46:47], v[120:123]// 00000000F93C: D3F30078 0DE25D72
	s_waitcnt lgkmcnt(0)                                       // 00000000F944: BF8CC07F
	v_mfma_f32_16x16x32_fp8_fp8 v[116:119], a[100:101], v[48:49], v[116:119]// 00000000F948: D3F30074 0DD26164
	v_mfma_f32_16x16x32_fp8_fp8 v[120:123], a[116:117], v[48:49], v[120:123]// 00000000F950: D3F30078 0DE26174
	v_mfma_f32_16x16x32_fp8_fp8 v[116:119], a[102:103], v[50:51], v[116:119]// 00000000F958: D3F30074 0DD26566
	v_mfma_f32_16x16x32_fp8_fp8 v[120:123], a[118:119], v[50:51], v[120:123]// 00000000F960: D3F30078 0DE26576
	s_addk_i32 s64, 0x100                                      // 00000000F968: B7400100

000000000000f96c <label_34DB>:
	s_cmp_lt_i32 s64, s62                                      // 00000000F96C: BF043E40
	s_cbranch_scc0 label_3B92                                  // 00000000F970: BF8406B5
	s_waitcnt vmcnt(10)                                        // 00000000F974: BF8C0F7A
	v_mfma_f32_16x16x32_fp8_fp8 v[4:7], a[56:57], a[0:1], 0    // 00000000F978: D3F30004 1A020138
	s_add_u32 s12, s86, s69                                    // 00000000F980: 800C4556
	s_addc_u32 s13, s87, 0                                     // 00000000F984: 820D8057
	v_mfma_f32_16x16x32_fp8_fp8 v[4:7], a[58:59], a[2:3], v[4:7]// 00000000F988: D3F30004 1C12053A
	s_add_u32 s16, s88, s70                                    // 00000000F990: 80104658
	s_addc_u32 s17, s89, 0                                     // 00000000F994: 82118059
	v_mfma_f32_16x16x32_fp8_fp8 v[4:7], a[60:61], a[4:5], v[4:7]// 00000000F998: D3F30004 1C12093C
	buffer_load_dwordx4 a[24:27], v232, s[12:15], 0 offen      // 00000000F9A0: E05C1000 808318E8
	v_mfma_f32_16x16x32_fp8_fp8 v[4:7], a[62:63], a[6:7], v[4:7]// 00000000F9A8: D3F30004 1C120D3E
	s_add_u32 s20, s90, s71                                    // 00000000F9B0: 8014475A
	s_addc_u32 s21, s91, 0                                     // 00000000F9B4: 8215805B
	v_mfma_f32_16x16x32_fp8_fp8 v[8:11], a[64:65], a[0:1], 0   // 00000000F9B8: D3F30008 1A020140
	s_add_u32 s24, s92, s71                                    // 00000000F9C0: 8018475C
	s_addc_u32 s25, s93, 0                                     // 00000000F9C4: 8219805D
	v_mfma_f32_16x16x32_fp8_fp8 v[8:11], a[66:67], a[2:3], v[8:11]// 00000000F9C8: D3F30008 1C220542
	s_add_u32 s69, s69, 0x1000                                 // 00000000F9D0: 8045FF45 00001000
	s_add_u32 s70, s70, 0x8000                                 // 00000000F9D8: 8046FF46 00008000
	v_mfma_f32_16x16x32_fp8_fp8 v[8:11], a[68:69], a[4:5], v[8:11]// 00000000F9E0: D3F30008 1C220944
	buffer_load_dwordx4 a[28:31], v233, s[12:15], 0 offen      // 00000000F9E8: E05C1000 80831CE9
	v_mfma_f32_16x16x32_fp8_fp8 v[8:11], a[70:71], a[6:7], v[8:11]// 00000000F9F0: D3F30008 1C220D46
	v_mfma_f32_16x16x32_fp8_fp8 v[12:15], a[72:73], a[0:1], 0  // 00000000F9F8: D3F3000C 1A020148
	v_mfma_f32_16x16x32_fp8_fp8 v[12:15], a[74:75], a[2:3], v[12:15]// 00000000FA00: D3F3000C 1C32054A
	v_mfma_f32_16x16x32_fp8_fp8 v[12:15], a[76:77], a[4:5], v[12:15]// 00000000FA08: D3F3000C 1C32094C
	buffer_load_dwordx4 a[32:35], v232, s[12:15], 0 offen offset:1024// 00000000FA10: E05C1400 808320E8
	v_mfma_f32_16x16x32_fp8_fp8 v[12:15], a[78:79], a[6:7], v[12:15]// 00000000FA18: D3F3000C 1C320D4E
	v_mfma_f32_16x16x32_fp8_fp8 v[16:19], a[80:81], a[0:1], 0  // 00000000FA20: D3F30010 1A020150
	v_mfma_f32_16x16x32_fp8_fp8 v[16:19], a[82:83], a[2:3], v[16:19]// 00000000FA28: D3F30010 1C420552
	v_mfma_f32_16x16x32_fp8_fp8 v[16:19], a[84:85], a[4:5], v[16:19]// 00000000FA30: D3F30010 1C420954
	buffer_load_dwordx4 a[36:39], v233, s[12:15], 0 offen offset:1024// 00000000FA38: E05C1400 808324E9
	v_mfma_f32_16x16x32_fp8_fp8 v[16:19], a[86:87], a[6:7], v[16:19]// 00000000FA40: D3F30010 1C420D56
	v_mfma_f32_16x16x32_fp8_fp8 v[20:23], a[56:57], a[8:9], 0  // 00000000FA48: D3F30014 1A021138
	v_mfma_f32_16x16x32_fp8_fp8 v[20:23], a[58:59], a[10:11], v[20:23]// 00000000FA50: D3F30014 1C52153A
	v_mfma_f32_16x16x32_fp8_fp8 v[20:23], a[60:61], a[12:13], v[20:23]// 00000000FA58: D3F30014 1C52193C
	buffer_load_dwordx4 a[40:43], v232, s[12:15], 0 offen offset:2048// 00000000FA60: E05C1800 808328E8
	v_mfma_f32_16x16x32_fp8_fp8 v[20:23], a[62:63], a[14:15], v[20:23]// 00000000FA68: D3F30014 1C521D3E
	v_mfma_f32_16x16x32_fp8_fp8 v[24:27], a[64:65], a[8:9], 0  // 00000000FA70: D3F30018 1A021140
	v_mfma_f32_16x16x32_fp8_fp8 v[24:27], a[66:67], a[10:11], v[24:27]// 00000000FA78: D3F30018 1C621542
	v_mfma_f32_16x16x32_fp8_fp8 v[24:27], a[68:69], a[12:13], v[24:27]// 00000000FA80: D3F30018 1C621944
	buffer_load_dwordx4 a[44:47], v233, s[12:15], 0 offen offset:2048// 00000000FA88: E05C1800 80832CE9
	v_mfma_f32_16x16x32_fp8_fp8 v[24:27], a[70:71], a[14:15], v[24:27]// 00000000FA90: D3F30018 1C621D46
	v_mfma_f32_16x16x32_fp8_fp8 v[28:31], a[72:73], a[8:9], 0  // 00000000FA98: D3F3001C 1A021148
	v_mfma_f32_16x16x32_fp8_fp8 v[28:31], a[74:75], a[10:11], v[28:31]// 00000000FAA0: D3F3001C 1C72154A
	v_mfma_f32_16x16x32_fp8_fp8 v[28:31], a[76:77], a[12:13], v[28:31]// 00000000FAA8: D3F3001C 1C72194C
	buffer_load_dwordx4 a[48:51], v232, s[12:15], 0 offen offset:3072// 00000000FAB0: E05C1C00 808330E8
	v_mfma_f32_16x16x32_fp8_fp8 v[28:31], a[78:79], a[14:15], v[28:31]// 00000000FAB8: D3F3001C 1C721D4E
	v_mfma_f32_16x16x32_fp8_fp8 v[32:35], a[80:81], a[8:9], 0  // 00000000FAC0: D3F30020 1A021150
	v_mfma_f32_16x16x32_fp8_fp8 v[32:35], a[82:83], a[10:11], v[32:35]// 00000000FAC8: D3F30020 1C821552
	v_mfma_f32_16x16x32_fp8_fp8 v[32:35], a[84:85], a[12:13], v[32:35]// 00000000FAD0: D3F30020 1C821954
	buffer_load_dwordx4 a[52:55], v233, s[12:15], 0 offen offset:3072// 00000000FAD8: E05C1C00 808334E9
	v_mfma_f32_16x16x32_fp8_fp8 v[32:35], a[86:87], a[14:15], v[32:35]// 00000000FAE0: D3F30020 1C821D56
	v_mfma_f32_16x16x32_fp8_fp8 v[36:39], a[56:57], a[16:17], 0// 00000000FAE8: D3F30024 1A022138
	v_mfma_f32_16x16x32_fp8_fp8 v[36:39], a[58:59], a[18:19], v[36:39]// 00000000FAF0: D3F30024 1C92253A
	v_mfma_f32_16x16x32_fp8_fp8 v[36:39], a[60:61], a[20:21], v[36:39]// 00000000FAF8: D3F30024 1C92293C
	v_mfma_f32_16x16x32_fp8_fp8 v[36:39], a[62:63], a[22:23], v[36:39]// 00000000FB00: D3F30024 1C922D3E
	v_mfma_f32_16x16x32_fp8_fp8 v[40:43], a[64:65], a[16:17], 0// 00000000FB08: D3F30028 1A022140
	v_mfma_f32_16x16x32_fp8_fp8 v[40:43], a[66:67], a[18:19], v[40:43]// 00000000FB10: D3F30028 1CA22542
	v_mfma_f32_16x16x32_fp8_fp8 v[40:43], a[68:69], a[20:21], v[40:43]// 00000000FB18: D3F30028 1CA22944
	v_mfma_f32_16x16x32_fp8_fp8 v[40:43], a[70:71], a[22:23], v[40:43]// 00000000FB20: D3F30028 1CA22D46
	v_mfma_f32_16x16x32_fp8_fp8 v[44:47], a[72:73], a[16:17], 0// 00000000FB28: D3F3002C 1A022148
	v_mfma_f32_16x16x32_fp8_fp8 v[44:47], a[74:75], a[18:19], v[44:47]// 00000000FB30: D3F3002C 1CB2254A
	v_mfma_f32_16x16x32_fp8_fp8 v[44:47], a[76:77], a[20:21], v[44:47]// 00000000FB38: D3F3002C 1CB2294C
	v_mfma_f32_16x16x32_fp8_fp8 v[44:47], a[78:79], a[22:23], v[44:47]// 00000000FB40: D3F3002C 1CB22D4E
	v_mfma_f32_16x16x32_fp8_fp8 v[48:51], a[80:81], a[16:17], 0// 00000000FB48: D3F30030 1A022150
	v_mfma_f32_16x16x32_fp8_fp8 v[48:51], a[82:83], a[18:19], v[48:51]// 00000000FB50: D3F30030 1CC22552
	v_mfma_f32_16x16x32_fp8_fp8 v[48:51], a[84:85], a[20:21], v[48:51]// 00000000FB58: D3F30030 1CC22954
	v_mfma_f32_16x16x32_fp8_fp8 v[48:51], a[86:87], a[22:23], v[48:51]// 00000000FB60: D3F30030 1CC22D56
	s_waitcnt vmcnt(16)                                        // 00000000FB68: BF8C4F70
	v_or_b32_dpp v36, v44, v36 row_shr:8 row_mask:0xf bank_mask:0xf bound_ctrl:1// 00000000FB6C: 284848FA FF09182C
	v_or_b32_dpp v37, v45, v37 row_shr:8 row_mask:0xf bank_mask:0xf bound_ctrl:1// 00000000FB74: 284A4AFA FF09182D
	v_or_b32_dpp v38, v46, v38 row_shr:8 row_mask:0xf bank_mask:0xf bound_ctrl:1// 00000000FB7C: 284C4CFA FF09182E
	v_or_b32_dpp v39, v47, v39 row_shr:8 row_mask:0xf bank_mask:0xf bound_ctrl:1// 00000000FB84: 284E4EFA FF09182F
	v_or_b32_dpp v40, v48, v40 row_shr:8 row_mask:0xf bank_mask:0xf bound_ctrl:1// 00000000FB8C: 285050FA FF091830
	v_or_b32_dpp v41, v49, v41 row_shr:8 row_mask:0xf bank_mask:0xf bound_ctrl:1// 00000000FB94: 285252FA FF091831
	v_or_b32_dpp v42, v50, v42 row_shr:8 row_mask:0xf bank_mask:0xf bound_ctrl:1// 00000000FB9C: 285454FA FF091832
	v_or_b32_dpp v43, v51, v43 row_shr:8 row_mask:0xf bank_mask:0xf bound_ctrl:1// 00000000FBA4: 285656FA FF091833
	v_pk_mul_f32 v[4:5], v[148:149], v[4:5]                    // 00000000FBAC: D3B14004 18020994
	v_pk_mul_f32 v[6:7], v[148:149], v[6:7]                    // 00000000FBB4: D3B14006 18020D94
	v_pk_mul_f32 v[8:9], v[148:149], v[8:9]                    // 00000000FBBC: D3B14008 18021194
	v_pk_mul_f32 v[10:11], v[148:149], v[10:11]                // 00000000FBC4: D3B1400A 18021594
	v_pk_mul_f32 v[12:13], v[148:149], v[12:13]                // 00000000FBCC: D3B1400C 18021994
	v_pk_mul_f32 v[14:15], v[148:149], v[14:15]                // 00000000FBD4: D3B1400E 18021D94
	v_pk_mul_f32 v[16:17], v[148:149], v[16:17]                // 00000000FBDC: D3B14010 18022194
	v_pk_mul_f32 v[18:19], v[148:149], v[18:19]                // 00000000FBE4: D3B14012 18022594
	v_mul_f32_e32 v4, v155, v4                                 // 00000000FBEC: 0A08099B
	v_mul_f32_e32 v5, v155, v5                                 // 00000000FBF0: 0A0A0B9B
	v_mul_f32_e32 v6, v155, v6                                 // 00000000FBF4: 0A0C0D9B
	v_mul_f32_e32 v7, v155, v7                                 // 00000000FBF8: 0A0E0F9B
	v_mul_f32_e32 v8, v155, v8                                 // 00000000FBFC: 0A10119B
	v_mul_f32_e32 v9, v155, v9                                 // 00000000FC00: 0A12139B
	v_mul_f32_e32 v10, v155, v10                               // 00000000FC04: 0A14159B
	v_mul_f32_e32 v11, v155, v11                               // 00000000FC08: 0A16179B
	v_mul_f32_e32 v12, v155, v12                               // 00000000FC0C: 0A18199B
	v_mul_f32_e32 v13, v155, v13                               // 00000000FC10: 0A1A1B9B
	v_mul_f32_e32 v14, v155, v14                               // 00000000FC14: 0A1C1D9B
	v_mul_f32_e32 v15, v155, v15                               // 00000000FC18: 0A1E1F9B
	v_mul_f32_e32 v16, v155, v16                               // 00000000FC1C: 0A20219B
	v_mul_f32_e32 v17, v155, v17                               // 00000000FC20: 0A22239B
	v_mul_f32_e32 v18, v155, v18                               // 00000000FC24: 0A24259B
	v_mul_f32_e32 v19, v155, v19                               // 00000000FC28: 0A26279B
	v_pk_mul_f32 v[20:21], v[150:151], v[20:21]                // 00000000FC2C: D3B14014 18022996
	v_pk_mul_f32 v[22:23], v[150:151], v[22:23]                // 00000000FC34: D3B14016 18022D96
	v_pk_mul_f32 v[24:25], v[150:151], v[24:25]                // 00000000FC3C: D3B14018 18023196
	v_pk_mul_f32 v[26:27], v[150:151], v[26:27]                // 00000000FC44: D3B1401A 18023596
	v_pk_mul_f32 v[28:29], v[150:151], v[28:29]                // 00000000FC4C: D3B1401C 18023996
	v_pk_mul_f32 v[30:31], v[150:151], v[30:31]                // 00000000FC54: D3B1401E 18023D96
	v_pk_mul_f32 v[32:33], v[150:151], v[32:33]                // 00000000FC5C: D3B14020 18024196
	v_pk_mul_f32 v[34:35], v[150:151], v[34:35]                // 00000000FC64: D3B14022 18024596
	v_mul_f32_e32 v20, v155, v20                               // 00000000FC6C: 0A28299B
	v_mul_f32_e32 v21, v155, v21                               // 00000000FC70: 0A2A2B9B
	v_mul_f32_e32 v22, v155, v22                               // 00000000FC74: 0A2C2D9B
	v_mul_f32_e32 v23, v155, v23                               // 00000000FC78: 0A2E2F9B
	v_mul_f32_e32 v24, v155, v24                               // 00000000FC7C: 0A30319B
	v_mul_f32_e32 v25, v155, v25                               // 00000000FC80: 0A32339B
	v_mul_f32_e32 v26, v155, v26                               // 00000000FC84: 0A34359B
	v_mul_f32_e32 v27, v155, v27                               // 00000000FC88: 0A36379B
	v_mul_f32_e32 v28, v155, v28                               // 00000000FC8C: 0A38399B
	v_mul_f32_e32 v29, v155, v29                               // 00000000FC90: 0A3A3B9B
	v_mul_f32_e32 v30, v155, v30                               // 00000000FC94: 0A3C3D9B
	v_mul_f32_e32 v31, v155, v31                               // 00000000FC98: 0A3E3F9B
	v_mul_f32_e32 v32, v155, v32                               // 00000000FC9C: 0A40419B
	v_mul_f32_e32 v33, v155, v33                               // 00000000FCA0: 0A42439B
	v_mul_f32_e32 v34, v155, v34                               // 00000000FCA4: 0A44459B
	v_mul_f32_e32 v35, v155, v35                               // 00000000FCA8: 0A46479B
	v_pk_mul_f32 v[36:37], v[152:153], v[36:37]                // 00000000FCAC: D3B14024 18024998
	v_pk_mul_f32 v[38:39], v[152:153], v[38:39]                // 00000000FCB4: D3B14026 18024D98
	v_pk_mul_f32 v[40:41], v[152:153], v[40:41]                // 00000000FCBC: D3B14028 18025198
	v_pk_mul_f32 v[42:43], v[152:153], v[42:43]                // 00000000FCC4: D3B1402A 18025598
	v_mul_f32_e32 v36, v155, v36                               // 00000000FCCC: 0A48499B
	v_mul_f32_e32 v37, v155, v37                               // 00000000FCD0: 0A4A4B9B
	v_mul_f32_e32 v38, v155, v38                               // 00000000FCD4: 0A4C4D9B
	v_mul_f32_e32 v39, v155, v39                               // 00000000FCD8: 0A4E4F9B
	v_mul_f32_e32 v40, v155, v40                               // 00000000FCDC: 0A50519B
	v_mul_f32_e32 v41, v155, v41                               // 00000000FCE0: 0A52539B
	v_mul_f32_e32 v42, v155, v42                               // 00000000FCE4: 0A54559B
	v_mul_f32_e32 v43, v155, v43                               // 00000000FCE8: 0A56579B
	v_add_u32_e32 v168, s64, v222                              // 00000000FCEC: 6951BC40
	v_add_u32_e32 v169, 0, v168                                // 00000000FCF0: 69535080
	v_cmp_lt_u32_e64 s[98:99], v169, v219                      // 00000000FCF4: D0C90062 0003B7A9
	s_nop 0                                                    // 00000000FCFC: BF800000
	v_cndmask_b32_e64 v4, v225, v4, s[98:99]                   // 00000000FD00: D1000004 018A09E1
	v_add_u32_e32 v169, 1, v168                                // 00000000FD08: 69535081
	v_cmp_lt_u32_e64 s[98:99], v169, v219                      // 00000000FD0C: D0C90062 0003B7A9
	s_nop 0                                                    // 00000000FD14: BF800000
	v_cndmask_b32_e64 v5, v225, v5, s[98:99]                   // 00000000FD18: D1000005 018A0BE1
	v_add_u32_e32 v169, 2, v168                                // 00000000FD20: 69535082
	v_cmp_lt_u32_e64 s[98:99], v169, v219                      // 00000000FD24: D0C90062 0003B7A9
	s_nop 0                                                    // 00000000FD2C: BF800000
	v_cndmask_b32_e64 v6, v225, v6, s[98:99]                   // 00000000FD30: D1000006 018A0DE1
	v_add_u32_e32 v169, 3, v168                                // 00000000FD38: 69535083
	v_cmp_lt_u32_e64 s[98:99], v169, v219                      // 00000000FD3C: D0C90062 0003B7A9
	s_nop 0                                                    // 00000000FD44: BF800000
	v_cndmask_b32_e64 v7, v225, v7, s[98:99]                   // 00000000FD48: D1000007 018A0FE1
	v_add_u32_e32 v169, 64, v168                               // 00000000FD50: 695350C0
	v_cmp_lt_u32_e64 s[98:99], v169, v219                      // 00000000FD54: D0C90062 0003B7A9
	s_nop 0                                                    // 00000000FD5C: BF800000
	v_cndmask_b32_e64 v8, v225, v8, s[98:99]                   // 00000000FD60: D1000008 018A11E1
	v_add_u32_e32 v169, 0x41, v168                             // 00000000FD68: 695350FF 00000041
	v_cmp_lt_u32_e64 s[98:99], v169, v219                      // 00000000FD70: D0C90062 0003B7A9
	s_nop 0                                                    // 00000000FD78: BF800000
	v_cndmask_b32_e64 v9, v225, v9, s[98:99]                   // 00000000FD7C: D1000009 018A13E1
	v_add_u32_e32 v169, 0x42, v168                             // 00000000FD84: 695350FF 00000042
	v_cmp_lt_u32_e64 s[98:99], v169, v219                      // 00000000FD8C: D0C90062 0003B7A9
	s_nop 0                                                    // 00000000FD94: BF800000
	v_cndmask_b32_e64 v10, v225, v10, s[98:99]                 // 00000000FD98: D100000A 018A15E1
	v_add_u32_e32 v169, 0x43, v168                             // 00000000FDA0: 695350FF 00000043
	v_cmp_lt_u32_e64 s[98:99], v169, v219                      // 00000000FDA8: D0C90062 0003B7A9
	s_nop 0                                                    // 00000000FDB0: BF800000
	v_cndmask_b32_e64 v11, v225, v11, s[98:99]                 // 00000000FDB4: D100000B 018A17E1
	v_add_u32_e32 v169, 0x80, v168                             // 00000000FDBC: 695350FF 00000080
	v_cmp_lt_u32_e64 s[98:99], v169, v219                      // 00000000FDC4: D0C90062 0003B7A9
	s_nop 0                                                    // 00000000FDCC: BF800000
	v_cndmask_b32_e64 v12, v225, v12, s[98:99]                 // 00000000FDD0: D100000C 018A19E1
	v_add_u32_e32 v169, 0x81, v168                             // 00000000FDD8: 695350FF 00000081
	v_cmp_lt_u32_e64 s[98:99], v169, v219                      // 00000000FDE0: D0C90062 0003B7A9
	s_nop 0                                                    // 00000000FDE8: BF800000
	v_cndmask_b32_e64 v13, v225, v13, s[98:99]                 // 00000000FDEC: D100000D 018A1BE1
	v_add_u32_e32 v169, 0x82, v168                             // 00000000FDF4: 695350FF 00000082
	v_cmp_lt_u32_e64 s[98:99], v169, v219                      // 00000000FDFC: D0C90062 0003B7A9
	s_nop 0                                                    // 00000000FE04: BF800000
	v_cndmask_b32_e64 v14, v225, v14, s[98:99]                 // 00000000FE08: D100000E 018A1DE1
	v_add_u32_e32 v169, 0x83, v168                             // 00000000FE10: 695350FF 00000083
	v_cmp_lt_u32_e64 s[98:99], v169, v219                      // 00000000FE18: D0C90062 0003B7A9
	s_nop 0                                                    // 00000000FE20: BF800000
	v_cndmask_b32_e64 v15, v225, v15, s[98:99]                 // 00000000FE24: D100000F 018A1FE1
	v_add_u32_e32 v169, 0xc0, v168                             // 00000000FE2C: 695350FF 000000C0
	v_cmp_lt_u32_e64 s[98:99], v169, v219                      // 00000000FE34: D0C90062 0003B7A9
	s_nop 0                                                    // 00000000FE3C: BF800000
	v_cndmask_b32_e64 v16, v225, v16, s[98:99]                 // 00000000FE40: D1000010 018A21E1
	v_add_u32_e32 v169, 0xc1, v168                             // 00000000FE48: 695350FF 000000C1
	v_cmp_lt_u32_e64 s[98:99], v169, v219                      // 00000000FE50: D0C90062 0003B7A9
	s_nop 0                                                    // 00000000FE58: BF800000
	v_cndmask_b32_e64 v17, v225, v17, s[98:99]                 // 00000000FE5C: D1000011 018A23E1
	v_add_u32_e32 v169, 0xc2, v168                             // 00000000FE64: 695350FF 000000C2
	v_cmp_lt_u32_e64 s[98:99], v169, v219                      // 00000000FE6C: D0C90062 0003B7A9
	s_nop 0                                                    // 00000000FE74: BF800000
	v_cndmask_b32_e64 v18, v225, v18, s[98:99]                 // 00000000FE78: D1000012 018A25E1
	v_add_u32_e32 v169, 0xc3, v168                             // 00000000FE80: 695350FF 000000C3
	v_cmp_lt_u32_e64 s[98:99], v169, v219                      // 00000000FE88: D0C90062 0003B7A9
	s_nop 0                                                    // 00000000FE90: BF800000
	v_cndmask_b32_e64 v19, v225, v19, s[98:99]                 // 00000000FE94: D1000013 018A27E1
	v_add_u32_e32 v169, 0, v168                                // 00000000FE9C: 69535080
	v_cmp_lt_u32_e64 s[98:99], v169, v220                      // 00000000FEA0: D0C90062 0003B9A9
	s_nop 0                                                    // 00000000FEA8: BF800000
	v_cndmask_b32_e64 v20, v225, v20, s[98:99]                 // 00000000FEAC: D1000014 018A29E1
	v_add_u32_e32 v169, 1, v168                                // 00000000FEB4: 69535081
	v_cmp_lt_u32_e64 s[98:99], v169, v220                      // 00000000FEB8: D0C90062 0003B9A9
	s_nop 0                                                    // 00000000FEC0: BF800000
	v_cndmask_b32_e64 v21, v225, v21, s[98:99]                 // 00000000FEC4: D1000015 018A2BE1
	v_add_u32_e32 v169, 2, v168                                // 00000000FECC: 69535082
	v_cmp_lt_u32_e64 s[98:99], v169, v220                      // 00000000FED0: D0C90062 0003B9A9
	s_nop 0                                                    // 00000000FED8: BF800000
	v_cndmask_b32_e64 v22, v225, v22, s[98:99]                 // 00000000FEDC: D1000016 018A2DE1
	v_add_u32_e32 v169, 3, v168                                // 00000000FEE4: 69535083
	v_cmp_lt_u32_e64 s[98:99], v169, v220                      // 00000000FEE8: D0C90062 0003B9A9
	s_nop 0                                                    // 00000000FEF0: BF800000
	v_cndmask_b32_e64 v23, v225, v23, s[98:99]                 // 00000000FEF4: D1000017 018A2FE1
	v_add_u32_e32 v169, 64, v168                               // 00000000FEFC: 695350C0
	v_cmp_lt_u32_e64 s[98:99], v169, v220                      // 00000000FF00: D0C90062 0003B9A9
	s_nop 0                                                    // 00000000FF08: BF800000
	v_cndmask_b32_e64 v24, v225, v24, s[98:99]                 // 00000000FF0C: D1000018 018A31E1
	v_add_u32_e32 v169, 0x41, v168                             // 00000000FF14: 695350FF 00000041
	v_cmp_lt_u32_e64 s[98:99], v169, v220                      // 00000000FF1C: D0C90062 0003B9A9
	s_nop 0                                                    // 00000000FF24: BF800000
	v_cndmask_b32_e64 v25, v225, v25, s[98:99]                 // 00000000FF28: D1000019 018A33E1
	v_add_u32_e32 v169, 0x42, v168                             // 00000000FF30: 695350FF 00000042
	v_cmp_lt_u32_e64 s[98:99], v169, v220                      // 00000000FF38: D0C90062 0003B9A9
	s_nop 0                                                    // 00000000FF40: BF800000
	v_cndmask_b32_e64 v26, v225, v26, s[98:99]                 // 00000000FF44: D100001A 018A35E1
	v_add_u32_e32 v169, 0x43, v168                             // 00000000FF4C: 695350FF 00000043
	v_cmp_lt_u32_e64 s[98:99], v169, v220                      // 00000000FF54: D0C90062 0003B9A9
	s_nop 0                                                    // 00000000FF5C: BF800000
	v_cndmask_b32_e64 v27, v225, v27, s[98:99]                 // 00000000FF60: D100001B 018A37E1
	v_add_u32_e32 v169, 0x80, v168                             // 00000000FF68: 695350FF 00000080
	v_cmp_lt_u32_e64 s[98:99], v169, v220                      // 00000000FF70: D0C90062 0003B9A9
	s_nop 0                                                    // 00000000FF78: BF800000
	v_cndmask_b32_e64 v28, v225, v28, s[98:99]                 // 00000000FF7C: D100001C 018A39E1
	v_add_u32_e32 v169, 0x81, v168                             // 00000000FF84: 695350FF 00000081
	v_cmp_lt_u32_e64 s[98:99], v169, v220                      // 00000000FF8C: D0C90062 0003B9A9
	s_nop 0                                                    // 00000000FF94: BF800000
	v_cndmask_b32_e64 v29, v225, v29, s[98:99]                 // 00000000FF98: D100001D 018A3BE1
	v_add_u32_e32 v169, 0x82, v168                             // 00000000FFA0: 695350FF 00000082
	v_cmp_lt_u32_e64 s[98:99], v169, v220                      // 00000000FFA8: D0C90062 0003B9A9
	s_nop 0                                                    // 00000000FFB0: BF800000
	v_cndmask_b32_e64 v30, v225, v30, s[98:99]                 // 00000000FFB4: D100001E 018A3DE1
	v_add_u32_e32 v169, 0x83, v168                             // 00000000FFBC: 695350FF 00000083
	v_cmp_lt_u32_e64 s[98:99], v169, v220                      // 00000000FFC4: D0C90062 0003B9A9
	s_nop 0                                                    // 00000000FFCC: BF800000
	v_cndmask_b32_e64 v31, v225, v31, s[98:99]                 // 00000000FFD0: D100001F 018A3FE1
	v_add_u32_e32 v169, 0xc0, v168                             // 00000000FFD8: 695350FF 000000C0
	v_cmp_lt_u32_e64 s[98:99], v169, v220                      // 00000000FFE0: D0C90062 0003B9A9
	s_nop 0                                                    // 00000000FFE8: BF800000
	v_cndmask_b32_e64 v32, v225, v32, s[98:99]                 // 00000000FFEC: D1000020 018A41E1
	v_add_u32_e32 v169, 0xc1, v168                             // 00000000FFF4: 695350FF 000000C1
	v_cmp_lt_u32_e64 s[98:99], v169, v220                      // 00000000FFFC: D0C90062 0003B9A9
	s_nop 0                                                    // 000000010004: BF800000
	v_cndmask_b32_e64 v33, v225, v33, s[98:99]                 // 000000010008: D1000021 018A43E1
	v_add_u32_e32 v169, 0xc2, v168                             // 000000010010: 695350FF 000000C2
	v_cmp_lt_u32_e64 s[98:99], v169, v220                      // 000000010018: D0C90062 0003B9A9
	s_nop 0                                                    // 000000010020: BF800000
	v_cndmask_b32_e64 v34, v225, v34, s[98:99]                 // 000000010024: D1000022 018A45E1
	v_add_u32_e32 v169, 0xc3, v168                             // 00000001002C: 695350FF 000000C3
	v_cmp_lt_u32_e64 s[98:99], v169, v220                      // 000000010034: D0C90062 0003B9A9
	s_nop 0                                                    // 00000001003C: BF800000
	v_cndmask_b32_e64 v35, v225, v35, s[98:99]                 // 000000010040: D1000023 018A47E1
	v_add_u32_e32 v168, s64, v223                              // 000000010048: 6951BE40
	v_add_u32_e32 v169, 0, v168                                // 00000001004C: 69535080
	v_cmp_lt_u32_e64 s[98:99], v169, v221                      // 000000010050: D0C90062 0003BBA9
	s_nop 0                                                    // 000000010058: BF800000
	v_cndmask_b32_e64 v36, v225, v36, s[98:99]                 // 00000001005C: D1000024 018A49E1
	v_add_u32_e32 v169, 1, v168                                // 000000010064: 69535081
	v_cmp_lt_u32_e64 s[98:99], v169, v221                      // 000000010068: D0C90062 0003BBA9
	s_nop 0                                                    // 000000010070: BF800000
	v_cndmask_b32_e64 v37, v225, v37, s[98:99]                 // 000000010074: D1000025 018A4BE1
	v_add_u32_e32 v169, 2, v168                                // 00000001007C: 69535082
	v_cmp_lt_u32_e64 s[98:99], v169, v221                      // 000000010080: D0C90062 0003BBA9
	s_nop 0                                                    // 000000010088: BF800000
	v_cndmask_b32_e64 v38, v225, v38, s[98:99]                 // 00000001008C: D1000026 018A4DE1
	v_add_u32_e32 v169, 3, v168                                // 000000010094: 69535083
	v_cmp_lt_u32_e64 s[98:99], v169, v221                      // 000000010098: D0C90062 0003BBA9
	s_nop 0                                                    // 0000000100A0: BF800000
	v_cndmask_b32_e64 v39, v225, v39, s[98:99]                 // 0000000100A4: D1000027 018A4FE1
	v_add_u32_e32 v169, 64, v168                               // 0000000100AC: 695350C0
	v_cmp_lt_u32_e64 s[98:99], v169, v221                      // 0000000100B0: D0C90062 0003BBA9
	s_nop 0                                                    // 0000000100B8: BF800000
	v_cndmask_b32_e64 v40, v225, v40, s[98:99]                 // 0000000100BC: D1000028 018A51E1
	v_add_u32_e32 v169, 0x41, v168                             // 0000000100C4: 695350FF 00000041
	v_cmp_lt_u32_e64 s[98:99], v169, v221                      // 0000000100CC: D0C90062 0003BBA9
	s_nop 0                                                    // 0000000100D4: BF800000
	v_cndmask_b32_e64 v41, v225, v41, s[98:99]                 // 0000000100D8: D1000029 018A53E1
	v_add_u32_e32 v169, 0x42, v168                             // 0000000100E0: 695350FF 00000042
	v_cmp_lt_u32_e64 s[98:99], v169, v221                      // 0000000100E8: D0C90062 0003BBA9
	s_nop 0                                                    // 0000000100F0: BF800000
	v_cndmask_b32_e64 v42, v225, v42, s[98:99]                 // 0000000100F4: D100002A 018A55E1
	v_add_u32_e32 v169, 0x43, v168                             // 0000000100FC: 695350FF 00000043
	v_cmp_lt_u32_e64 s[98:99], v169, v221                      // 000000010104: D0C90062 0003BBA9
	s_nop 0                                                    // 00000001010C: BF800000
	v_cndmask_b32_e64 v43, v225, v43, s[98:99]                 // 000000010110: D100002B 018A57E1
	v_mov_b32_e32 v190, v36                                    // 000000010118: 7F7C0324
	v_max3_f32 v190, v36, v37, v190                            // 00000001011C: D1D300BE 06FA4B24
	v_max3_f32 v190, v38, v39, v190                            // 000000010124: D1D300BE 06FA4F26
	v_max3_f32 v190, v40, v41, v190                            // 00000001012C: D1D300BE 06FA5328
	v_max3_f32 v190, v42, v43, v190                            // 000000010134: D1D300BE 06FA572A
	v_mov_b32_e32 v189, v20                                    // 00000001013C: 7F7A0314
	v_max3_f32 v189, v20, v21, v189                            // 000000010140: D1D300BD 06F62B14
	v_max3_f32 v189, v22, v23, v189                            // 000000010148: D1D300BD 06F62F16
	v_max3_f32 v189, v24, v25, v189                            // 000000010150: D1D300BD 06F63318
	v_max3_f32 v189, v26, v27, v189                            // 000000010158: D1D300BD 06F6371A
	v_max3_f32 v189, v28, v29, v189                            // 000000010160: D1D300BD 06F63B1C
	v_max3_f32 v189, v30, v31, v189                            // 000000010168: D1D300BD 06F63F1E
	v_max3_f32 v189, v32, v33, v189                            // 000000010170: D1D300BD 06F64320
	v_max3_f32 v189, v34, v35, v189                            // 000000010178: D1D300BD 06F64722
	v_mov_b32_e32 v188, v4                                     // 000000010180: 7F780304
	v_max3_f32 v188, v4, v5, v188                              // 000000010184: D1D300BC 06F20B04
	v_max3_f32 v188, v6, v7, v188                              // 00000001018C: D1D300BC 06F20F06
	v_max3_f32 v188, v8, v9, v188                              // 000000010194: D1D300BC 06F21308
	v_max3_f32 v188, v10, v11, v188                            // 00000001019C: D1D300BC 06F2170A
	v_max3_f32 v188, v12, v13, v188                            // 0000000101A4: D1D300BC 06F21B0C
	v_max3_f32 v188, v14, v15, v188                            // 0000000101AC: D1D300BC 06F21F0E
	v_max3_f32 v188, v16, v17, v188                            // 0000000101B4: D1D300BC 06F22310
	v_max3_f32 v188, v18, v19, v188                            // 0000000101BC: D1D300BC 06F22712
	v_max_f32_dpp v190, v190, v190 row_ror:8 row_mask:0xf bank_mask:0xf// 0000000101C4: 177D7CFA FF0128BE
	ds_bpermute_b32 v172, v212, v188                           // 0000000101CC: D87E0000 AC00BCD4
	ds_bpermute_b32 v173, v213, v188                           // 0000000101D4: D87E0000 AD00BCD5
	ds_bpermute_b32 v174, v214, v188                           // 0000000101DC: D87E0000 AE00BCD6
	ds_bpermute_b32 v175, v212, v189                           // 0000000101E4: D87E0000 AF00BDD4
	ds_bpermute_b32 v176, v213, v189                           // 0000000101EC: D87E0000 B000BDD5
	ds_bpermute_b32 v177, v214, v189                           // 0000000101F4: D87E0000 B100BDD6
	ds_bpermute_b32 v178, v212, v190                           // 0000000101FC: D87E0000 B200BED4
	ds_bpermute_b32 v179, v213, v190                           // 000000010204: D87E0000 B300BED5
	ds_bpermute_b32 v180, v214, v190                           // 00000001020C: D87E0000 B400BED6
	v_pk_mul_f32 v[124:125], v[200:201], v[124:125]            // 000000010214: D3B1407C 1802F9C8
	v_pk_mul_f32 v[126:127], v[200:201], v[126:127]            // 00000001021C: D3B1407E 1802FDC8
	v_pk_mul_f32 v[128:129], v[200:201], v[128:129]            // 000000010224: D3B14080 180301C8
	v_pk_mul_f32 v[130:131], v[200:201], v[130:131]            // 00000001022C: D3B14082 180305C8
	v_pk_mul_f32 v[132:133], v[202:203], v[132:133]            // 000000010234: D3B14084 180309CA
	v_pk_mul_f32 v[134:135], v[202:203], v[134:135]            // 00000001023C: D3B14086 18030DCA
	v_pk_mul_f32 v[136:137], v[202:203], v[136:137]            // 000000010244: D3B14088 180311CA
	v_pk_mul_f32 v[138:139], v[202:203], v[138:139]            // 00000001024C: D3B1408A 180315CA
	v_pk_mul_f32 v[140:141], v[204:205], v[140:141]            // 000000010254: D3B1408C 180319CC
	v_pk_mul_f32 v[142:143], v[204:205], v[142:143]            // 00000001025C: D3B1408E 18031DCC
	v_pk_mul_f32 v[144:145], v[204:205], v[144:145]            // 000000010264: D3B14090 180321CC
	v_pk_mul_f32 v[146:147], v[204:205], v[146:147]            // 00000001026C: D3B14092 180325CC
	s_waitcnt lgkmcnt(6)                                       // 000000010274: BF8CC67F
	v_max3_f32 v188, v172, v173, v188                          // 000000010278: D1D300BC 06F35BAC
	v_max_f32_e32 v188, v174, v188                             // 000000010280: 177979AE
	s_waitcnt lgkmcnt(3)                                       // 000000010284: BF8CC37F
	v_max3_f32 v189, v175, v176, v189                          // 000000010288: D1D300BD 06F761AF
	v_max_f32_e32 v189, v177, v189                             // 000000010290: 177B7BB1
	s_waitcnt lgkmcnt(0)                                       // 000000010294: BF8CC07F
	v_max3_f32 v190, v178, v179, v190                          // 000000010298: D1D300BE 06FB67B2
	v_max_f32_e32 v190, v180, v190                             // 0000000102A0: 177D7DB4
	ds_write_b128 v252, v[188:191]                             // 0000000102A4: D9BE0000 0000BCFC
	s_waitcnt lgkmcnt(0)                                       // 0000000102AC: BF8CC07F
	s_barrier                                                  // 0000000102B0: BF8A0000
	ds_read_b128 v[172:175], v253                              // 0000000102B4: D9FE0000 AC0000FD
	ds_read_b128 v[176:179], v253 offset:256                   // 0000000102BC: D9FE0100 B00000FD
	ds_read_b128 v[180:183], v253 offset:512                   // 0000000102C4: D9FE0200 B40000FD
	ds_read_b128 v[184:187], v253 offset:768                   // 0000000102CC: D9FE0300 B80000FD
	v_pk_mul_f32 v[100:101], v[158:159], v[100:101]            // 0000000102D4: D3B14064 1802C99E
	v_pk_mul_f32 v[102:103], v[158:159], v[102:103]            // 0000000102DC: D3B14066 1802CD9E
	v_pk_mul_f32 v[104:105], v[158:159], v[104:105]            // 0000000102E4: D3B14068 1802D19E
	v_pk_mul_f32 v[106:107], v[158:159], v[106:107]            // 0000000102EC: D3B1406A 1802D59E
	v_pk_mul_f32 v[108:109], v[160:161], v[108:109]            // 0000000102F4: D3B1406C 1802D9A0
	v_pk_mul_f32 v[110:111], v[160:161], v[110:111]            // 0000000102FC: D3B1406E 1802DDA0
	v_pk_mul_f32 v[112:113], v[160:161], v[112:113]            // 000000010304: D3B14070 1802E1A0
	v_pk_mul_f32 v[114:115], v[160:161], v[114:115]            // 00000001030C: D3B14072 1802E5A0
	v_pk_mul_f32 v[116:117], v[162:163], v[116:117]            // 000000010314: D3B14074 1802E9A2
	v_pk_mul_f32 v[118:119], v[162:163], v[118:119]            // 00000001031C: D3B14076 1802EDA2
	v_pk_mul_f32 v[120:121], v[162:163], v[120:121]            // 000000010324: D3B14078 1802F1A2
	v_pk_mul_f32 v[122:123], v[162:163], v[122:123]            // 00000001032C: D3B1407A 1802F5A2
	s_waitcnt lgkmcnt(0)                                       // 000000010334: BF8CC07F
	v_max3_f32 v188, v172, v176, v188                          // 000000010338: D1D300BC 06F361AC
	v_max3_f32 v189, v173, v177, v189                          // 000000010340: D1D300BD 06F763AD
	v_max3_f32 v190, v174, v178, v190                          // 000000010348: D1D300BE 06FB65AE
	v_max3_f32 v188, v180, v184, v188                          // 000000010350: D1D300BC 06F371B4
	v_max3_f32 v189, v181, v185, v189                          // 000000010358: D1D300BD 06F773B5
	v_max3_f32 v190, v182, v186, v190                          // 000000010360: D1D300BE 06FB75B6
	v_max_f32_e32 v197, v188, v194                             // 000000010368: 178B85BC
	v_mul_f32_e64 v168, -s46, v197                             // 00000001036C: D10500A8 20038A2E
	v_mov_b32_e32 v169, v168                                   // 000000010374: 7F5203A8
	v_pk_fma_f32 v[4:5], v[4:5], s[46:47], v[168:169]          // 000000010378: D3B04004 1EA05D04
	v_pk_fma_f32 v[6:7], v[6:7], s[46:47], v[168:169]          // 000000010380: D3B04006 1EA05D06
	v_exp_f32_e32 v4, v4                                       // 000000010388: 7E084104
	v_exp_f32_e32 v5, v5                                       // 00000001038C: 7E0A4105
	v_exp_f32_e32 v6, v6                                       // 000000010390: 7E0C4106
	v_exp_f32_e32 v7, v7                                       // 000000010394: 7E0E4107
	v_pk_fma_f32 v[8:9], v[8:9], s[46:47], v[168:169]          // 000000010398: D3B04008 1EA05D08
	v_pk_fma_f32 v[10:11], v[10:11], s[46:47], v[168:169]      // 0000000103A0: D3B0400A 1EA05D0A
	v_exp_f32_e32 v8, v8                                       // 0000000103A8: 7E104108
	v_exp_f32_e32 v9, v9                                       // 0000000103AC: 7E124109
	v_exp_f32_e32 v10, v10                                     // 0000000103B0: 7E14410A
	v_exp_f32_e32 v11, v11                                     // 0000000103B4: 7E16410B
	v_pk_fma_f32 v[12:13], v[12:13], s[46:47], v[168:169]      // 0000000103B8: D3B0400C 1EA05D0C
	v_pk_fma_f32 v[14:15], v[14:15], s[46:47], v[168:169]      // 0000000103C0: D3B0400E 1EA05D0E
	v_exp_f32_e32 v12, v12                                     // 0000000103C8: 7E18410C
	v_exp_f32_e32 v13, v13                                     // 0000000103CC: 7E1A410D
	v_exp_f32_e32 v14, v14                                     // 0000000103D0: 7E1C410E
	v_exp_f32_e32 v15, v15                                     // 0000000103D4: 7E1E410F
	v_pk_fma_f32 v[16:17], v[16:17], s[46:47], v[168:169]      // 0000000103D8: D3B04010 1EA05D10
	v_pk_fma_f32 v[18:19], v[18:19], s[46:47], v[168:169]      // 0000000103E0: D3B04012 1EA05D12
	v_exp_f32_e32 v16, v16                                     // 0000000103E8: 7E204110
	v_exp_f32_e32 v17, v17                                     // 0000000103EC: 7E224111
	v_exp_f32_e32 v18, v18                                     // 0000000103F0: 7E244112
	v_exp_f32_e32 v19, v19                                     // 0000000103F4: 7E264113
	v_max_f32_e32 v198, v189, v195                             // 0000000103F8: 178D87BD
	v_mul_f32_e64 v168, -s46, v198                             // 0000000103FC: D10500A8 20038C2E
	v_mov_b32_e32 v169, v168                                   // 000000010404: 7F5203A8
	v_pk_fma_f32 v[20:21], v[20:21], s[46:47], v[168:169]      // 000000010408: D3B04014 1EA05D14
	v_pk_fma_f32 v[22:23], v[22:23], s[46:47], v[168:169]      // 000000010410: D3B04016 1EA05D16
	v_exp_f32_e32 v20, v20                                     // 000000010418: 7E284114
	v_exp_f32_e32 v21, v21                                     // 00000001041C: 7E2A4115
	v_exp_f32_e32 v22, v22                                     // 000000010420: 7E2C4116
	v_exp_f32_e32 v23, v23                                     // 000000010424: 7E2E4117
	v_pk_fma_f32 v[24:25], v[24:25], s[46:47], v[168:169]      // 000000010428: D3B04018 1EA05D18
	v_pk_fma_f32 v[26:27], v[26:27], s[46:47], v[168:169]      // 000000010430: D3B0401A 1EA05D1A
	v_exp_f32_e32 v24, v24                                     // 000000010438: 7E304118
	v_exp_f32_e32 v25, v25                                     // 00000001043C: 7E324119
	v_exp_f32_e32 v26, v26                                     // 000000010440: 7E34411A
	v_exp_f32_e32 v27, v27                                     // 000000010444: 7E36411B
	v_pk_fma_f32 v[28:29], v[28:29], s[46:47], v[168:169]      // 000000010448: D3B0401C 1EA05D1C
	v_pk_fma_f32 v[30:31], v[30:31], s[46:47], v[168:169]      // 000000010450: D3B0401E 1EA05D1E
	v_exp_f32_e32 v28, v28                                     // 000000010458: 7E38411C
	v_exp_f32_e32 v29, v29                                     // 00000001045C: 7E3A411D
	v_exp_f32_e32 v30, v30                                     // 000000010460: 7E3C411E
	v_exp_f32_e32 v31, v31                                     // 000000010464: 7E3E411F
	v_pk_fma_f32 v[32:33], v[32:33], s[46:47], v[168:169]      // 000000010468: D3B04020 1EA05D20
	v_pk_fma_f32 v[34:35], v[34:35], s[46:47], v[168:169]      // 000000010470: D3B04022 1EA05D22
	v_exp_f32_e32 v32, v32                                     // 000000010478: 7E404120
	v_exp_f32_e32 v33, v33                                     // 00000001047C: 7E424121
	v_exp_f32_e32 v34, v34                                     // 000000010480: 7E444122
	v_exp_f32_e32 v35, v35                                     // 000000010484: 7E464123
	v_max_f32_e32 v199, v190, v196                             // 000000010488: 178F89BE
	v_mul_f32_e64 v168, -s46, v199                             // 00000001048C: D10500A8 20038E2E
	v_mov_b32_e32 v169, v168                                   // 000000010494: 7F5203A8
	v_pk_fma_f32 v[36:37], v[36:37], s[46:47], v[168:169]      // 000000010498: D3B04024 1EA05D24
	v_pk_fma_f32 v[38:39], v[38:39], s[46:47], v[168:169]      // 0000000104A0: D3B04026 1EA05D26
	v_exp_f32_e32 v36, v36                                     // 0000000104A8: 7E484124
	v_exp_f32_e32 v37, v37                                     // 0000000104AC: 7E4A4125
	v_exp_f32_e32 v38, v38                                     // 0000000104B0: 7E4C4126
	v_exp_f32_e32 v39, v39                                     // 0000000104B4: 7E4E4127
	v_pk_fma_f32 v[40:41], v[40:41], s[46:47], v[168:169]      // 0000000104B8: D3B04028 1EA05D28
	v_pk_fma_f32 v[42:43], v[42:43], s[46:47], v[168:169]      // 0000000104C0: D3B0402A 1EA05D2A
	v_exp_f32_e32 v40, v40                                     // 0000000104C8: 7E504128
	v_exp_f32_e32 v41, v41                                     // 0000000104CC: 7E524129
	v_exp_f32_e32 v42, v42                                     // 0000000104D0: 7E54412A
	v_exp_f32_e32 v43, v43                                     // 0000000104D4: 7E56412B
	v_mul_f32_e32 v52, v157, v4                                // 0000000104D8: 0A68099D
	v_mul_f32_e32 v53, v157, v5                                // 0000000104DC: 0A6A0B9D
	v_mul_f32_e32 v54, v157, v6                                // 0000000104E0: 0A6C0D9D
	v_mul_f32_e32 v55, v157, v7                                // 0000000104E4: 0A6E0F9D
	v_mul_f32_e32 v56, v157, v8                                // 0000000104E8: 0A70119D
	v_mul_f32_e32 v57, v157, v9                                // 0000000104EC: 0A72139D
	v_mul_f32_e32 v58, v157, v10                               // 0000000104F0: 0A74159D
	v_mul_f32_e32 v59, v157, v11                               // 0000000104F4: 0A76179D
	v_mul_f32_e32 v60, v157, v12                               // 0000000104F8: 0A78199D
	v_mul_f32_e32 v61, v157, v13                               // 0000000104FC: 0A7A1B9D
	v_mul_f32_e32 v62, v157, v14                               // 000000010500: 0A7C1D9D
	v_mul_f32_e32 v63, v157, v15                               // 000000010504: 0A7E1F9D
	v_mul_f32_e32 v64, v157, v16                               // 000000010508: 0A80219D
	v_mul_f32_e32 v65, v157, v17                               // 00000001050C: 0A82239D
	v_mul_f32_e32 v66, v157, v18                               // 000000010510: 0A84259D
	v_mul_f32_e32 v67, v157, v19                               // 000000010514: 0A86279D
	v_mul_f32_e32 v68, v157, v20                               // 000000010518: 0A88299D
	v_mul_f32_e32 v69, v157, v21                               // 00000001051C: 0A8A2B9D
	v_mul_f32_e32 v70, v157, v22                               // 000000010520: 0A8C2D9D
	v_mul_f32_e32 v71, v157, v23                               // 000000010524: 0A8E2F9D
	v_mul_f32_e32 v72, v157, v24                               // 000000010528: 0A90319D
	v_mul_f32_e32 v73, v157, v25                               // 00000001052C: 0A92339D
	v_mul_f32_e32 v74, v157, v26                               // 000000010530: 0A94359D
	v_mul_f32_e32 v75, v157, v27                               // 000000010534: 0A96379D
	v_mul_f32_e32 v76, v157, v28                               // 000000010538: 0A98399D
	v_mul_f32_e32 v77, v157, v29                               // 00000001053C: 0A9A3B9D
	v_mul_f32_e32 v78, v157, v30                               // 000000010540: 0A9C3D9D
	v_mul_f32_e32 v79, v157, v31                               // 000000010544: 0A9E3F9D
	v_mul_f32_e32 v80, v157, v32                               // 000000010548: 0AA0419D
	v_mul_f32_e32 v81, v157, v33                               // 00000001054C: 0AA2439D
	v_mul_f32_e32 v82, v157, v34                               // 000000010550: 0AA4459D
	v_mul_f32_e32 v83, v157, v35                               // 000000010554: 0AA6479D
	v_mul_f32_e32 v84, v157, v36                               // 000000010558: 0AA8499D
	v_mul_f32_e32 v85, v157, v37                               // 00000001055C: 0AAA4B9D
	v_mul_f32_e32 v86, v157, v38                               // 000000010560: 0AAC4D9D
	v_mul_f32_e32 v87, v157, v39                               // 000000010564: 0AAE4F9D
	v_mul_f32_e32 v88, v157, v40                               // 000000010568: 0AB0519D
	v_mul_f32_e32 v89, v157, v41                               // 00000001056C: 0AB2539D
	v_mul_f32_e32 v90, v157, v42                               // 000000010570: 0AB4559D
	v_mul_f32_e32 v91, v157, v43                               // 000000010574: 0AB6579D
	v_add_u32_e32 v168, s64, v222                              // 000000010578: 6951BC40
	v_add_u32_e32 v169, 0, v168                                // 00000001057C: 69535080
	v_cmp_lt_u32_e32 vcc, v169, v219                           // 000000010580: 7D93B7A9
	s_nop 0                                                    // 000000010584: BF800000
	v_cndmask_b32_e32 v52, 0, v52, vcc                         // 000000010588: 00686880
	v_add_u32_e32 v169, 1, v168                                // 00000001058C: 69535081
	v_cmp_lt_u32_e32 vcc, v169, v219                           // 000000010590: 7D93B7A9
	s_nop 0                                                    // 000000010594: BF800000
	v_cndmask_b32_e32 v53, 0, v53, vcc                         // 000000010598: 006A6A80
	v_add_u32_e32 v169, 2, v168                                // 00000001059C: 69535082
	v_cmp_lt_u32_e32 vcc, v169, v219                           // 0000000105A0: 7D93B7A9
	s_nop 0                                                    // 0000000105A4: BF800000
	v_cndmask_b32_e32 v54, 0, v54, vcc                         // 0000000105A8: 006C6C80
	v_add_u32_e32 v169, 3, v168                                // 0000000105AC: 69535083
	v_cmp_lt_u32_e32 vcc, v169, v219                           // 0000000105B0: 7D93B7A9
	s_nop 0                                                    // 0000000105B4: BF800000
	v_cndmask_b32_e32 v55, 0, v55, vcc                         // 0000000105B8: 006E6E80
	v_add_u32_e32 v169, 64, v168                               // 0000000105BC: 695350C0
	v_cmp_lt_u32_e32 vcc, v169, v219                           // 0000000105C0: 7D93B7A9
	s_nop 0                                                    // 0000000105C4: BF800000
	v_cndmask_b32_e32 v56, 0, v56, vcc                         // 0000000105C8: 00707080
	v_add_u32_e32 v169, 0x41, v168                             // 0000000105CC: 695350FF 00000041
	v_cmp_lt_u32_e32 vcc, v169, v219                           // 0000000105D4: 7D93B7A9
	s_nop 0                                                    // 0000000105D8: BF800000
	v_cndmask_b32_e32 v57, 0, v57, vcc                         // 0000000105DC: 00727280
	v_add_u32_e32 v169, 0x42, v168                             // 0000000105E0: 695350FF 00000042
	v_cmp_lt_u32_e32 vcc, v169, v219                           // 0000000105E8: 7D93B7A9
	s_nop 0                                                    // 0000000105EC: BF800000
	v_cndmask_b32_e32 v58, 0, v58, vcc                         // 0000000105F0: 00747480
	v_add_u32_e32 v169, 0x43, v168                             // 0000000105F4: 695350FF 00000043
	v_cmp_lt_u32_e32 vcc, v169, v219                           // 0000000105FC: 7D93B7A9
	s_nop 0                                                    // 000000010600: BF800000
	v_cndmask_b32_e32 v59, 0, v59, vcc                         // 000000010604: 00767680
	v_add_u32_e32 v169, 0x80, v168                             // 000000010608: 695350FF 00000080
	v_cmp_lt_u32_e32 vcc, v169, v219                           // 000000010610: 7D93B7A9
	s_nop 0                                                    // 000000010614: BF800000
	v_cndmask_b32_e32 v60, 0, v60, vcc                         // 000000010618: 00787880
	v_add_u32_e32 v169, 0x81, v168                             // 00000001061C: 695350FF 00000081
	v_cmp_lt_u32_e32 vcc, v169, v219                           // 000000010624: 7D93B7A9
	s_nop 0                                                    // 000000010628: BF800000
	v_cndmask_b32_e32 v61, 0, v61, vcc                         // 00000001062C: 007A7A80
	v_add_u32_e32 v169, 0x82, v168                             // 000000010630: 695350FF 00000082
	v_cmp_lt_u32_e32 vcc, v169, v219                           // 000000010638: 7D93B7A9
	s_nop 0                                                    // 00000001063C: BF800000
	v_cndmask_b32_e32 v62, 0, v62, vcc                         // 000000010640: 007C7C80
	v_add_u32_e32 v169, 0x83, v168                             // 000000010644: 695350FF 00000083
	v_cmp_lt_u32_e32 vcc, v169, v219                           // 00000001064C: 7D93B7A9
	s_nop 0                                                    // 000000010650: BF800000
	v_cndmask_b32_e32 v63, 0, v63, vcc                         // 000000010654: 007E7E80
	v_add_u32_e32 v169, 0xc0, v168                             // 000000010658: 695350FF 000000C0
	v_cmp_lt_u32_e32 vcc, v169, v219                           // 000000010660: 7D93B7A9
	s_nop 0                                                    // 000000010664: BF800000
	v_cndmask_b32_e32 v64, 0, v64, vcc                         // 000000010668: 00808080
	v_add_u32_e32 v169, 0xc1, v168                             // 00000001066C: 695350FF 000000C1
	v_cmp_lt_u32_e32 vcc, v169, v219                           // 000000010674: 7D93B7A9
	s_nop 0                                                    // 000000010678: BF800000
	v_cndmask_b32_e32 v65, 0, v65, vcc                         // 00000001067C: 00828280
	v_add_u32_e32 v169, 0xc2, v168                             // 000000010680: 695350FF 000000C2
	v_cmp_lt_u32_e32 vcc, v169, v219                           // 000000010688: 7D93B7A9
	s_nop 0                                                    // 00000001068C: BF800000
	v_cndmask_b32_e32 v66, 0, v66, vcc                         // 000000010690: 00848480
	v_add_u32_e32 v169, 0xc3, v168                             // 000000010694: 695350FF 000000C3
	v_cmp_lt_u32_e32 vcc, v169, v219                           // 00000001069C: 7D93B7A9
	s_nop 0                                                    // 0000000106A0: BF800000
	v_cndmask_b32_e32 v67, 0, v67, vcc                         // 0000000106A4: 00868680
	v_add_u32_e32 v169, 0, v168                                // 0000000106A8: 69535080
	v_cmp_lt_u32_e32 vcc, v169, v220                           // 0000000106AC: 7D93B9A9
	s_nop 0                                                    // 0000000106B0: BF800000
	v_cndmask_b32_e32 v68, 0, v68, vcc                         // 0000000106B4: 00888880
	v_add_u32_e32 v169, 1, v168                                // 0000000106B8: 69535081
	v_cmp_lt_u32_e32 vcc, v169, v220                           // 0000000106BC: 7D93B9A9
	s_nop 0                                                    // 0000000106C0: BF800000
	v_cndmask_b32_e32 v69, 0, v69, vcc                         // 0000000106C4: 008A8A80
	v_add_u32_e32 v169, 2, v168                                // 0000000106C8: 69535082
	v_cmp_lt_u32_e32 vcc, v169, v220                           // 0000000106CC: 7D93B9A9
	s_nop 0                                                    // 0000000106D0: BF800000
	v_cndmask_b32_e32 v70, 0, v70, vcc                         // 0000000106D4: 008C8C80
	v_add_u32_e32 v169, 3, v168                                // 0000000106D8: 69535083
	v_cmp_lt_u32_e32 vcc, v169, v220                           // 0000000106DC: 7D93B9A9
	s_nop 0                                                    // 0000000106E0: BF800000
	v_cndmask_b32_e32 v71, 0, v71, vcc                         // 0000000106E4: 008E8E80
	v_add_u32_e32 v169, 64, v168                               // 0000000106E8: 695350C0
	v_cmp_lt_u32_e32 vcc, v169, v220                           // 0000000106EC: 7D93B9A9
	s_nop 0                                                    // 0000000106F0: BF800000
	v_cndmask_b32_e32 v72, 0, v72, vcc                         // 0000000106F4: 00909080
	v_add_u32_e32 v169, 0x41, v168                             // 0000000106F8: 695350FF 00000041
	v_cmp_lt_u32_e32 vcc, v169, v220                           // 000000010700: 7D93B9A9
	s_nop 0                                                    // 000000010704: BF800000
	v_cndmask_b32_e32 v73, 0, v73, vcc                         // 000000010708: 00929280
	v_add_u32_e32 v169, 0x42, v168                             // 00000001070C: 695350FF 00000042
	v_cmp_lt_u32_e32 vcc, v169, v220                           // 000000010714: 7D93B9A9
	s_nop 0                                                    // 000000010718: BF800000
	v_cndmask_b32_e32 v74, 0, v74, vcc                         // 00000001071C: 00949480
	v_add_u32_e32 v169, 0x43, v168                             // 000000010720: 695350FF 00000043
	v_cmp_lt_u32_e32 vcc, v169, v220                           // 000000010728: 7D93B9A9
	s_nop 0                                                    // 00000001072C: BF800000
	v_cndmask_b32_e32 v75, 0, v75, vcc                         // 000000010730: 00969680
	v_add_u32_e32 v169, 0x80, v168                             // 000000010734: 695350FF 00000080
	v_cmp_lt_u32_e32 vcc, v169, v220                           // 00000001073C: 7D93B9A9
	s_nop 0                                                    // 000000010740: BF800000
	v_cndmask_b32_e32 v76, 0, v76, vcc                         // 000000010744: 00989880
	v_add_u32_e32 v169, 0x81, v168                             // 000000010748: 695350FF 00000081
	v_cmp_lt_u32_e32 vcc, v169, v220                           // 000000010750: 7D93B9A9
	s_nop 0                                                    // 000000010754: BF800000
	v_cndmask_b32_e32 v77, 0, v77, vcc                         // 000000010758: 009A9A80
	v_add_u32_e32 v169, 0x82, v168                             // 00000001075C: 695350FF 00000082
	v_cmp_lt_u32_e32 vcc, v169, v220                           // 000000010764: 7D93B9A9
	s_nop 0                                                    // 000000010768: BF800000
	v_cndmask_b32_e32 v78, 0, v78, vcc                         // 00000001076C: 009C9C80
	v_add_u32_e32 v169, 0x83, v168                             // 000000010770: 695350FF 00000083
	v_cmp_lt_u32_e32 vcc, v169, v220                           // 000000010778: 7D93B9A9
	s_nop 0                                                    // 00000001077C: BF800000
	v_cndmask_b32_e32 v79, 0, v79, vcc                         // 000000010780: 009E9E80
	v_add_u32_e32 v169, 0xc0, v168                             // 000000010784: 695350FF 000000C0
	v_cmp_lt_u32_e32 vcc, v169, v220                           // 00000001078C: 7D93B9A9
	s_nop 0                                                    // 000000010790: BF800000
	v_cndmask_b32_e32 v80, 0, v80, vcc                         // 000000010794: 00A0A080
	v_add_u32_e32 v169, 0xc1, v168                             // 000000010798: 695350FF 000000C1
	v_cmp_lt_u32_e32 vcc, v169, v220                           // 0000000107A0: 7D93B9A9
	s_nop 0                                                    // 0000000107A4: BF800000
	v_cndmask_b32_e32 v81, 0, v81, vcc                         // 0000000107A8: 00A2A280
	v_add_u32_e32 v169, 0xc2, v168                             // 0000000107AC: 695350FF 000000C2
	v_cmp_lt_u32_e32 vcc, v169, v220                           // 0000000107B4: 7D93B9A9
	s_nop 0                                                    // 0000000107B8: BF800000
	v_cndmask_b32_e32 v82, 0, v82, vcc                         // 0000000107BC: 00A4A480
	v_add_u32_e32 v169, 0xc3, v168                             // 0000000107C0: 695350FF 000000C3
	v_cmp_lt_u32_e32 vcc, v169, v220                           // 0000000107C8: 7D93B9A9
	s_nop 0                                                    // 0000000107CC: BF800000
	v_cndmask_b32_e32 v83, 0, v83, vcc                         // 0000000107D0: 00A6A680
	v_add_u32_e32 v168, s64, v223                              // 0000000107D4: 6951BE40
	v_add_u32_e32 v169, 0, v168                                // 0000000107D8: 69535080
	v_cmp_lt_u32_e32 vcc, v169, v221                           // 0000000107DC: 7D93BBA9
	s_nop 0                                                    // 0000000107E0: BF800000
	v_cndmask_b32_e32 v84, 0, v84, vcc                         // 0000000107E4: 00A8A880
	v_add_u32_e32 v169, 1, v168                                // 0000000107E8: 69535081
	v_cmp_lt_u32_e32 vcc, v169, v221                           // 0000000107EC: 7D93BBA9
	s_nop 0                                                    // 0000000107F0: BF800000
	v_cndmask_b32_e32 v85, 0, v85, vcc                         // 0000000107F4: 00AAAA80
	v_add_u32_e32 v169, 2, v168                                // 0000000107F8: 69535082
	v_cmp_lt_u32_e32 vcc, v169, v221                           // 0000000107FC: 7D93BBA9
	s_nop 0                                                    // 000000010800: BF800000
	v_cndmask_b32_e32 v86, 0, v86, vcc                         // 000000010804: 00ACAC80
	v_add_u32_e32 v169, 3, v168                                // 000000010808: 69535083
	v_cmp_lt_u32_e32 vcc, v169, v221                           // 00000001080C: 7D93BBA9
	s_nop 0                                                    // 000000010810: BF800000
	v_cndmask_b32_e32 v87, 0, v87, vcc                         // 000000010814: 00AEAE80
	v_add_u32_e32 v169, 64, v168                               // 000000010818: 695350C0
	v_cmp_lt_u32_e32 vcc, v169, v221                           // 00000001081C: 7D93BBA9
	s_nop 0                                                    // 000000010820: BF800000
	v_cndmask_b32_e32 v88, 0, v88, vcc                         // 000000010824: 00B0B080
	v_add_u32_e32 v169, 0x41, v168                             // 000000010828: 695350FF 00000041
	v_cmp_lt_u32_e32 vcc, v169, v221                           // 000000010830: 7D93BBA9
	s_nop 0                                                    // 000000010834: BF800000
	v_cndmask_b32_e32 v89, 0, v89, vcc                         // 000000010838: 00B2B280
	v_add_u32_e32 v169, 0x42, v168                             // 00000001083C: 695350FF 00000042
	v_cmp_lt_u32_e32 vcc, v169, v221                           // 000000010844: 7D93BBA9
	s_nop 0                                                    // 000000010848: BF800000
	v_cndmask_b32_e32 v90, 0, v90, vcc                         // 00000001084C: 00B4B480
	v_add_u32_e32 v169, 0x43, v168                             // 000000010850: 695350FF 00000043
	v_cmp_lt_u32_e32 vcc, v169, v221                           // 000000010858: 7D93BBA9
	s_nop 0                                                    // 00000001085C: BF800000
	v_cndmask_b32_e32 v91, 0, v91, vcc                         // 000000010860: 00B6B680
	buffer_load_dword v154, v238, s[20:23], 0 offen            // 000000010864: E0501000 80059AEE
	v_sub_f32_e32 v200, v194, v197                             // 00000001086C: 05918BC2
	v_cmp_eq_u32_e64 s[98:99], v225, v194                      // 000000010870: D0CA0062 000385E1
	v_cndmask_b32_e64 v200, v200, 0, s[98:99]                  // 000000010878: D10000C8 018901C8
	v_mov_b32_e32 v194, v197                                   // 000000010880: 7F8403C5
	v_mul_f32_e32 v200, s46, v200                              // 000000010884: 0B91902E
	v_exp_f32_e32 v200, v200                                   // 000000010888: 7F9041C8
	v_sub_f32_e32 v202, v195, v198                             // 00000001088C: 05958DC3
	v_cmp_eq_u32_e64 s[98:99], v225, v195                      // 000000010890: D0CA0062 000387E1
	v_cndmask_b32_e64 v202, v202, 0, s[98:99]                  // 000000010898: D10000CA 018901CA
	v_mov_b32_e32 v195, v198                                   // 0000000108A0: 7F8603C6
	v_mul_f32_e32 v202, s46, v202                              // 0000000108A4: 0B95942E
	v_exp_f32_e32 v202, v202                                   // 0000000108A8: 7F9441CA
	v_sub_f32_e32 v204, v196, v199                             // 0000000108AC: 05998FC4
	v_cmp_eq_u32_e64 s[98:99], v225, v196                      // 0000000108B0: D0CA0062 000389E1
	v_cndmask_b32_e64 v204, v204, 0, s[98:99]                  // 0000000108B8: D10000CC 018901CC
	v_mov_b32_e32 v196, v199                                   // 0000000108C0: 7F8803C7
	v_mul_f32_e32 v204, s46, v204                              // 0000000108C4: 0B99982E
	v_exp_f32_e32 v204, v204                                   // 0000000108C8: 7F9841CC
	v_mov_b32_e32 v201, v200                                   // 0000000108CC: 7F9203C8
	v_mov_b32_e32 v203, v202                                   // 0000000108D0: 7F9603CA
	v_mov_b32_e32 v205, v204                                   // 0000000108D4: 7F9A03CC
	s_waitcnt lgkmcnt(0)                                       // 0000000108D8: BF8CC07F
	s_barrier                                                  // 0000000108DC: BF8A0000
	buffer_load_dword v156, v239, s[24:27], 0 offen            // 0000000108E0: E0501000 80069CEF
	v_mul_f32_e32 v206, v200, v206                             // 0000000108E8: 0B9D9DC8
	v_mov_b32_e32 v207, 0                                      // 0000000108EC: 7F9E0280
	v_pk_add_f32 v[206:207], v[4:5], v[206:207]                // 0000000108F0: D3B240CE 18039D04
	v_pk_add_f32 v[206:207], v[6:7], v[206:207]                // 0000000108F8: D3B240CE 18039D06
	v_pk_add_f32 v[206:207], v[8:9], v[206:207]                // 000000010900: D3B240CE 18039D08
	v_pk_add_f32 v[206:207], v[10:11], v[206:207]              // 000000010908: D3B240CE 18039D0A
	v_pk_add_f32 v[206:207], v[12:13], v[206:207]              // 000000010910: D3B240CE 18039D0C
	v_pk_add_f32 v[206:207], v[14:15], v[206:207]              // 000000010918: D3B240CE 18039D0E
	v_pk_add_f32 v[206:207], v[16:17], v[206:207]              // 000000010920: D3B240CE 18039D10
	v_pk_add_f32 v[206:207], v[18:19], v[206:207]              // 000000010928: D3B240CE 18039D12
	v_add_f32_e32 v206, v207, v206                             // 000000010930: 039D9DCF
	v_mul_f32_e32 v208, v202, v208                             // 000000010934: 0BA1A1CA
	v_mov_b32_e32 v209, 0                                      // 000000010938: 7FA20280
	v_pk_add_f32 v[208:209], v[20:21], v[208:209]              // 00000001093C: D3B240D0 1803A114
	v_pk_add_f32 v[208:209], v[22:23], v[208:209]              // 000000010944: D3B240D0 1803A116
	v_pk_add_f32 v[208:209], v[24:25], v[208:209]              // 00000001094C: D3B240D0 1803A118
	v_pk_add_f32 v[208:209], v[26:27], v[208:209]              // 000000010954: D3B240D0 1803A11A
	v_pk_add_f32 v[208:209], v[28:29], v[208:209]              // 00000001095C: D3B240D0 1803A11C
	v_pk_add_f32 v[208:209], v[30:31], v[208:209]              // 000000010964: D3B240D0 1803A11E
	v_pk_add_f32 v[208:209], v[32:33], v[208:209]              // 00000001096C: D3B240D0 1803A120
	v_pk_add_f32 v[208:209], v[34:35], v[208:209]              // 000000010974: D3B240D0 1803A122
	v_add_f32_e32 v208, v209, v208                             // 00000001097C: 03A1A1D1
	v_mul_f32_e32 v210, v204, v210                             // 000000010980: 0BA5A5CC
	v_mov_b32_e32 v211, 0                                      // 000000010984: 7FA60280
	v_pk_add_f32 v[210:211], v[36:37], v[210:211]              // 000000010988: D3B240D2 1803A524
	v_pk_add_f32 v[210:211], v[38:39], v[210:211]              // 000000010990: D3B240D2 1803A526
	v_pk_add_f32 v[210:211], v[40:41], v[210:211]              // 000000010998: D3B240D2 1803A528
	v_pk_add_f32 v[210:211], v[42:43], v[210:211]              // 0000000109A0: D3B240D2 1803A52A
	v_add_f32_e32 v210, v211, v210                             // 0000000109A8: 03A5A5D3
	s_waitcnt lgkmcnt(0)                                       // 0000000109AC: BF8CC07F
	v_sub_f32_e32 v188, v188, v194                             // 0000000109B0: 057985BC
	v_sub_f32_e32 v189, v189, v195                             // 0000000109B4: 057B87BD
	v_sub_f32_e32 v190, v190, v196                             // 0000000109B8: 057D89BE
	v_mul_f32_e32 v188, s46, v188                              // 0000000109BC: 0B79782E
	v_mul_f32_e32 v189, s46, v189                              // 0000000109C0: 0B7B7A2E
	v_mul_f32_e32 v190, s46, v190                              // 0000000109C4: 0B7D7C2E
	v_exp_f32_e32 v188, v188                                   // 0000000109C8: 7F7841BC
	v_exp_f32_e32 v189, v189                                   // 0000000109CC: 7F7A41BD
	v_exp_f32_e32 v190, v190                                   // 0000000109D0: 7F7C41BE
	v_mul_f32_e32 v188, v157, v188                             // 0000000109D4: 0B79799D
	v_mul_f32_e32 v189, v157, v189                             // 0000000109D8: 0B7B7B9D
	v_mul_f32_e32 v190, v157, v190                             // 0000000109DC: 0B7D7D9D
	v_add_f32_e32 v188, 0x3089705f, v188                       // 0000000109E0: 037978FF 3089705F
	v_add_f32_e32 v189, 0x3089705f, v189                       // 0000000109E8: 037B7AFF 3089705F
	v_add_f32_e32 v190, 0x3089705f, v190                       // 0000000109F0: 037D7CFF 3089705F
	v_rcp_f32_e32 v188, v188                                   // 0000000109F8: 7F7845BC
	v_rcp_f32_e32 v189, v189                                   // 0000000109FC: 7F7A45BD
	v_rcp_f32_e32 v190, v190                                   // 000000010A00: 7F7C45BE
	v_mul_f32_e32 v188, 0x43700000, v188                       // 000000010A04: 0B7978FF 43700000
	v_mul_f32_e32 v189, 0x43700000, v189                       // 000000010A0C: 0B7B7AFF 43700000
	v_mul_f32_e32 v190, 0x43700000, v190                       // 000000010A14: 0B7D7CFF 43700000
	v_mov_b32_e32 v192, v190                                   // 000000010A1C: 7F8003BE
	v_mov_b32_e32 v193, v190                                   // 000000010A20: 7F8203BE
	v_mov_b32_e32 v190, v189                                   // 000000010A24: 7F7C03BD
	v_mov_b32_e32 v191, v189                                   // 000000010A28: 7F7E03BD
	v_mov_b32_e32 v189, v188                                   // 000000010A2C: 7F7A03BC
	v_pk_mul_f32 v[4:5], v[188:189], v[52:53]                  // 000000010A30: D3B14004 180269BC
	v_pk_mul_f32 v[6:7], v[188:189], v[54:55]                  // 000000010A38: D3B14006 18026DBC
	v_pk_mul_f32 v[8:9], v[188:189], v[56:57]                  // 000000010A40: D3B14008 180271BC
	v_pk_mul_f32 v[10:11], v[188:189], v[58:59]                // 000000010A48: D3B1400A 180275BC
	v_pk_mul_f32 v[12:13], v[188:189], v[60:61]                // 000000010A50: D3B1400C 180279BC
	v_pk_mul_f32 v[14:15], v[188:189], v[62:63]                // 000000010A58: D3B1400E 18027DBC
	v_pk_mul_f32 v[16:17], v[188:189], v[64:65]                // 000000010A60: D3B14010 180281BC
	v_pk_mul_f32 v[18:19], v[188:189], v[66:67]                // 000000010A68: D3B14012 180285BC
	v_pk_mul_f32 v[20:21], v[190:191], v[68:69]                // 000000010A70: D3B14014 180289BE
	v_pk_mul_f32 v[22:23], v[190:191], v[70:71]                // 000000010A78: D3B14016 18028DBE
	v_pk_mul_f32 v[24:25], v[190:191], v[72:73]                // 000000010A80: D3B14018 180291BE
	v_pk_mul_f32 v[26:27], v[190:191], v[74:75]                // 000000010A88: D3B1401A 180295BE
	v_pk_mul_f32 v[28:29], v[190:191], v[76:77]                // 000000010A90: D3B1401C 180299BE
	v_pk_mul_f32 v[30:31], v[190:191], v[78:79]                // 000000010A98: D3B1401E 18029DBE
	v_pk_mul_f32 v[32:33], v[190:191], v[80:81]                // 000000010AA0: D3B14020 1802A1BE
	v_pk_mul_f32 v[34:35], v[190:191], v[82:83]                // 000000010AA8: D3B14022 1802A5BE
	v_pk_mul_f32 v[36:37], v[192:193], v[84:85]                // 000000010AB0: D3B14024 1802A9C0
	v_pk_mul_f32 v[38:39], v[192:193], v[86:87]                // 000000010AB8: D3B14026 1802ADC0
	v_pk_mul_f32 v[40:41], v[192:193], v[88:89]                // 000000010AC0: D3B14028 1802B1C0
	v_pk_mul_f32 v[42:43], v[192:193], v[90:91]                // 000000010AC8: D3B1402A 1802B5C0
	v_cvt_pk_fp8_f32 v4, v4, v5                                // 000000010AD0: D2A20004 00020B04
	v_cvt_pk_fp8_f32 v4, v6, v7 op_sel:[0,0,1]                 // 000000010AD8: D2A24004 00020F06
	v_cvt_pk_fp8_f32 v5, v8, v9                                // 000000010AE0: D2A20005 00021308
	v_cvt_pk_fp8_f32 v5, v10, v11 op_sel:[0,0,1]               // 000000010AE8: D2A24005 0002170A
	v_cvt_pk_fp8_f32 v6, v12, v13                              // 000000010AF0: D2A20006 00021B0C
	v_cvt_pk_fp8_f32 v6, v14, v15 op_sel:[0,0,1]               // 000000010AF8: D2A24006 00021F0E
	v_cvt_pk_fp8_f32 v7, v16, v17                              // 000000010B00: D2A20007 00022310
	v_cvt_pk_fp8_f32 v7, v18, v19 op_sel:[0,0,1]               // 000000010B08: D2A24007 00022712
	v_cvt_pk_fp8_f32 v8, v20, v21                              // 000000010B10: D2A20008 00022B14
	v_cvt_pk_fp8_f32 v8, v22, v23 op_sel:[0,0,1]               // 000000010B18: D2A24008 00022F16
	v_cvt_pk_fp8_f32 v9, v24, v25                              // 000000010B20: D2A20009 00023318
	v_cvt_pk_fp8_f32 v9, v26, v27 op_sel:[0,0,1]               // 000000010B28: D2A24009 0002371A
	v_cvt_pk_fp8_f32 v10, v28, v29                             // 000000010B30: D2A2000A 00023B1C
	v_cvt_pk_fp8_f32 v10, v30, v31 op_sel:[0,0,1]              // 000000010B38: D2A2400A 00023F1E
	v_cvt_pk_fp8_f32 v11, v32, v33                             // 000000010B40: D2A2000B 00024320
	v_cvt_pk_fp8_f32 v11, v34, v35 op_sel:[0,0,1]              // 000000010B48: D2A2400B 00024722
	v_cvt_pk_fp8_f32 v12, v36, v37                             // 000000010B50: D2A2000C 00024B24
	v_cvt_pk_fp8_f32 v12, v38, v39 op_sel:[0,0,1]              // 000000010B58: D2A2400C 00024F26
	v_cvt_pk_fp8_f32 v13, v40, v41                             // 000000010B60: D2A2000D 00025328
	v_cvt_pk_fp8_f32 v13, v42, v43 op_sel:[0,0,1]              // 000000010B68: D2A2400D 0002572A
	v_mov_b32_dpp v14, v12 row_shl:8 row_mask:0xf bank_mask:0xf bound_ctrl:1// 000000010B70: 7E1C02FA FF09080C
	v_and_b32_e32 v12, v12, v224                               // 000000010B78: 2619C10C
	v_mov_b32_dpp v15, v13 row_shl:8 row_mask:0xf bank_mask:0xf bound_ctrl:1// 000000010B7C: 7E1E02FA FF09080D
	v_and_b32_e32 v13, v13, v224                               // 000000010B84: 261BC10D
	ds_write_b32 v254, v4 offset:8192                          // 000000010B88: D81A2000 000004FE
	ds_write_b32 v254, v5 offset:9216                          // 000000010B90: D81A2400 000005FE
	ds_write_b32 v254, v6 offset:10240                         // 000000010B98: D81A2800 000006FE
	ds_write_b32 v254, v7 offset:11264                         // 000000010BA0: D81A2C00 000007FE
	ds_write_b32 v254, v8 offset:12288                         // 000000010BA8: D81A3000 000008FE
	ds_write_b32 v254, v9 offset:13312                         // 000000010BB0: D81A3400 000009FE
	ds_write_b32 v254, v10 offset:14336                        // 000000010BB8: D81A3800 00000AFE
	ds_write_b32 v254, v11 offset:15360                        // 000000010BC0: D81A3C00 00000BFE
	ds_write_b32 v254, v12 offset:16384                        // 000000010BC8: D81A4000 00000CFE
	ds_write_b32 v254, v13 offset:17408                        // 000000010BD0: D81A4400 00000DFE
	ds_write_b32 v254, v14 offset:18432                        // 000000010BD8: D81A4800 00000EFE
	ds_write_b32 v254, v15 offset:19456                        // 000000010BE0: D81A4C00 00000FFE
	v_rcp_f32_e32 v158, v188                                   // 000000010BE8: 7F3C45BC
	v_rcp_f32_e32 v160, v190                                   // 000000010BEC: 7F4045BE
	v_rcp_f32_e32 v162, v192                                   // 000000010BF0: 7F4445C0
	v_mov_b32_e32 v159, v158                                   // 000000010BF4: 7F3E039E
	v_mov_b32_e32 v161, v160                                   // 000000010BF8: 7F4203A0
	v_mov_b32_e32 v163, v162                                   // 000000010BFC: 7F4603A2
	v_pk_add_f32 v[124:125], v[124:125], v[100:101]            // 000000010C00: D3B2407C 1802C97C
	v_pk_add_f32 v[126:127], v[126:127], v[102:103]            // 000000010C08: D3B2407E 1802CD7E
	v_pk_add_f32 v[128:129], v[128:129], v[104:105]            // 000000010C10: D3B24080 1802D180
	v_pk_add_f32 v[130:131], v[130:131], v[106:107]            // 000000010C18: D3B24082 1802D582
	v_pk_add_f32 v[132:133], v[132:133], v[108:109]            // 000000010C20: D3B24084 1802D984
	v_pk_add_f32 v[134:135], v[134:135], v[110:111]            // 000000010C28: D3B24086 1802DD86
	v_pk_add_f32 v[136:137], v[136:137], v[112:113]            // 000000010C30: D3B24088 1802E188
	v_pk_add_f32 v[138:139], v[138:139], v[114:115]            // 000000010C38: D3B2408A 1802E58A
	v_pk_add_f32 v[140:141], v[140:141], v[116:117]            // 000000010C40: D3B2408C 1802E98C
	v_pk_add_f32 v[142:143], v[142:143], v[118:119]            // 000000010C48: D3B2408E 1802ED8E
	v_pk_add_f32 v[144:145], v[144:145], v[120:121]            // 000000010C50: D3B24090 1802F190
	v_pk_add_f32 v[146:147], v[146:147], v[122:123]            // 000000010C58: D3B24092 1802F592
	s_waitcnt lgkmcnt(0)                                       // 000000010C60: BF8CC07F
	s_barrier                                                  // 000000010C64: BF8A0000
	ds_read_b128 v[4:7], v255 offset:8192                      // 000000010C68: D9FE2000 040000FF
	ds_read_b128 v[8:11], v255 offset:9216                     // 000000010C70: D9FE2400 080000FF
	ds_read_b128 v[12:15], v255 offset:10240                   // 000000010C78: D9FE2800 0C0000FF
	ds_read_b128 v[16:19], v255 offset:11264                   // 000000010C80: D9FE2C00 100000FF
	ds_read_b128 v[20:23], v255 offset:12288                   // 000000010C88: D9FE3000 140000FF
	ds_read_b128 v[24:27], v255 offset:13312                   // 000000010C90: D9FE3400 180000FF
	ds_read_b128 v[28:31], v255 offset:14336                   // 000000010C98: D9FE3800 1C0000FF
	ds_read_b128 v[32:35], v255 offset:15360                   // 000000010CA0: D9FE3C00 200000FF
	ds_read_b128 v[36:39], v255 offset:16384                   // 000000010CA8: D9FE4000 240000FF
	ds_read_b128 v[40:43], v255 offset:17408                   // 000000010CB0: D9FE4400 280000FF
	ds_read_b128 v[44:47], v255 offset:18432                   // 000000010CB8: D9FE4800 2C0000FF
	ds_read_b128 v[48:51], v255 offset:19456                   // 000000010CC0: D9FE4C00 300000FF
	s_waitcnt vmcnt(10)                                        // 000000010CC8: BF8C0F7A
	v_lshrrev_b32_e32 v1, 4, v0                                // 000000010CCC: 20020084
	v_lshlrev_b32_e32 v1, 4, v1                                // 000000010CD0: 24020284
	v_add_u32_e32 v168, s64, v1                                // 000000010CD4: 69500240
	v_add_u32_e32 v168, 4, v168                                // 000000010CD8: 69515084
	v_sub_i32 v168, v168, s62                                  // 000000010CDC: D29D00A8 00007DA8
	s_mov_b32 s54, 0                                           // 000000010CE4: BEB60080
	v_add_i32 v169, s54, v168                                  // 000000010CE8: D29C00A9 00035036
	v_cmp_lt_i32_e64 vcc, v169, 4                              // 000000010CF0: D0C1006A 000109A9
	v_min_u32_e32 v169, 4, v169                                // 000000010CF8: 1D535284
	v_lshlrev_b32_e32 v169, 3, v169                            // 000000010CFC: 25535283
	v_lshrrev_b32_e64 v170, v169, -1                           // 000000010D00: D11000AA 000183A9
	v_accvgpr_read_b32 v171, a120                              // 000000010D08: D3D840AB 18000178
	v_cndmask_b32_e32 v171, 0, v171, vcc                       // 000000010D10: 01575680
	v_and_b32_e32 v171, v171, v170                             // 000000010D14: 275755AB
	v_accvgpr_write_b32 a120, v171                             // 000000010D18: D3D94078 180001AB
	v_accvgpr_read_b32 v171, a136                              // 000000010D20: D3D840AB 18000188
	v_cndmask_b32_e32 v171, 0, v171, vcc                       // 000000010D28: 01575680
	v_and_b32_e32 v171, v171, v170                             // 000000010D2C: 275755AB
	v_accvgpr_write_b32 a136, v171                             // 000000010D30: D3D94088 180001AB
	s_mov_b32 s54, 4                                           // 000000010D38: BEB60084
	v_add_i32 v169, s54, v168                                  // 000000010D3C: D29C00A9 00035036
	v_cmp_lt_i32_e64 vcc, v169, 4                              // 000000010D44: D0C1006A 000109A9
	v_min_u32_e32 v169, 4, v169                                // 000000010D4C: 1D535284
	v_lshlrev_b32_e32 v169, 3, v169                            // 000000010D50: 25535283
	v_lshrrev_b32_e64 v170, v169, -1                           // 000000010D54: D11000AA 000183A9
	v_accvgpr_read_b32 v171, a121                              // 000000010D5C: D3D840AB 18000179
	v_cndmask_b32_e32 v171, 0, v171, vcc                       // 000000010D64: 01575680
	v_and_b32_e32 v171, v171, v170                             // 000000010D68: 275755AB
	v_accvgpr_write_b32 a121, v171                             // 000000010D6C: D3D94079 180001AB
	v_accvgpr_read_b32 v171, a137                              // 000000010D74: D3D840AB 18000189
	v_cndmask_b32_e32 v171, 0, v171, vcc                       // 000000010D7C: 01575680
	v_and_b32_e32 v171, v171, v170                             // 000000010D80: 275755AB
	v_accvgpr_write_b32 a137, v171                             // 000000010D84: D3D94089 180001AB
	s_mov_b32 s54, 8                                           // 000000010D8C: BEB60088
	v_add_i32 v169, s54, v168                                  // 000000010D90: D29C00A9 00035036
	v_cmp_lt_i32_e64 vcc, v169, 4                              // 000000010D98: D0C1006A 000109A9
	v_min_u32_e32 v169, 4, v169                                // 000000010DA0: 1D535284
	v_lshlrev_b32_e32 v169, 3, v169                            // 000000010DA4: 25535283
	v_lshrrev_b32_e64 v170, v169, -1                           // 000000010DA8: D11000AA 000183A9
	v_accvgpr_read_b32 v171, a122                              // 000000010DB0: D3D840AB 1800017A
	v_cndmask_b32_e32 v171, 0, v171, vcc                       // 000000010DB8: 01575680
	v_and_b32_e32 v171, v171, v170                             // 000000010DBC: 275755AB
	v_accvgpr_write_b32 a122, v171                             // 000000010DC0: D3D9407A 180001AB
	v_accvgpr_read_b32 v171, a138                              // 000000010DC8: D3D840AB 1800018A
	v_cndmask_b32_e32 v171, 0, v171, vcc                       // 000000010DD0: 01575680
	v_and_b32_e32 v171, v171, v170                             // 000000010DD4: 275755AB
	v_accvgpr_write_b32 a138, v171                             // 000000010DD8: D3D9408A 180001AB
	s_mov_b32 s54, 12                                          // 000000010DE0: BEB6008C
	v_add_i32 v169, s54, v168                                  // 000000010DE4: D29C00A9 00035036
	v_cmp_lt_i32_e64 vcc, v169, 4                              // 000000010DEC: D0C1006A 000109A9
	v_min_u32_e32 v169, 4, v169                                // 000000010DF4: 1D535284
	v_lshlrev_b32_e32 v169, 3, v169                            // 000000010DF8: 25535283
	v_lshrrev_b32_e64 v170, v169, -1                           // 000000010DFC: D11000AA 000183A9
	v_accvgpr_read_b32 v171, a123                              // 000000010E04: D3D840AB 1800017B
	v_cndmask_b32_e32 v171, 0, v171, vcc                       // 000000010E0C: 01575680
	v_and_b32_e32 v171, v171, v170                             // 000000010E10: 275755AB
	v_accvgpr_write_b32 a123, v171                             // 000000010E14: D3D9407B 180001AB
	v_accvgpr_read_b32 v171, a139                              // 000000010E1C: D3D840AB 1800018B
	v_cndmask_b32_e32 v171, 0, v171, vcc                       // 000000010E24: 01575680
	v_and_b32_e32 v171, v171, v170                             // 000000010E28: 275755AB
	v_accvgpr_write_b32 a139, v171                             // 000000010E2C: D3D9408B 180001AB
	s_mov_b32 s54, 64                                          // 000000010E34: BEB600C0
	v_add_i32 v169, s54, v168                                  // 000000010E38: D29C00A9 00035036
	v_cmp_lt_i32_e64 vcc, v169, 4                              // 000000010E40: D0C1006A 000109A9
	v_min_u32_e32 v169, 4, v169                                // 000000010E48: 1D535284
	v_lshlrev_b32_e32 v169, 3, v169                            // 000000010E4C: 25535283
	v_lshrrev_b32_e64 v170, v169, -1                           // 000000010E50: D11000AA 000183A9
	v_accvgpr_read_b32 v171, a124                              // 000000010E58: D3D840AB 1800017C
	v_cndmask_b32_e32 v171, 0, v171, vcc                       // 000000010E60: 01575680
	v_and_b32_e32 v171, v171, v170                             // 000000010E64: 275755AB
	v_accvgpr_write_b32 a124, v171                             // 000000010E68: D3D9407C 180001AB
	v_accvgpr_read_b32 v171, a140                              // 000000010E70: D3D840AB 1800018C
	v_cndmask_b32_e32 v171, 0, v171, vcc                       // 000000010E78: 01575680
	v_and_b32_e32 v171, v171, v170                             // 000000010E7C: 275755AB
	v_accvgpr_write_b32 a140, v171                             // 000000010E80: D3D9408C 180001AB
	s_mov_b32 s54, 0x44                                        // 000000010E88: BEB600FF 00000044
	v_add_i32 v169, s54, v168                                  // 000000010E90: D29C00A9 00035036
	v_cmp_lt_i32_e64 vcc, v169, 4                              // 000000010E98: D0C1006A 000109A9
	v_min_u32_e32 v169, 4, v169                                // 000000010EA0: 1D535284
	v_lshlrev_b32_e32 v169, 3, v169                            // 000000010EA4: 25535283
	v_lshrrev_b32_e64 v170, v169, -1                           // 000000010EA8: D11000AA 000183A9
	v_accvgpr_read_b32 v171, a125                              // 000000010EB0: D3D840AB 1800017D
	v_cndmask_b32_e32 v171, 0, v171, vcc                       // 000000010EB8: 01575680
	v_and_b32_e32 v171, v171, v170                             // 000000010EBC: 275755AB
	v_accvgpr_write_b32 a125, v171                             // 000000010EC0: D3D9407D 180001AB
	v_accvgpr_read_b32 v171, a141                              // 000000010EC8: D3D840AB 1800018D
	v_cndmask_b32_e32 v171, 0, v171, vcc                       // 000000010ED0: 01575680
	v_and_b32_e32 v171, v171, v170                             // 000000010ED4: 275755AB
	v_accvgpr_write_b32 a141, v171                             // 000000010ED8: D3D9408D 180001AB
	s_mov_b32 s54, 0x48                                        // 000000010EE0: BEB600FF 00000048
	v_add_i32 v169, s54, v168                                  // 000000010EE8: D29C00A9 00035036
	v_cmp_lt_i32_e64 vcc, v169, 4                              // 000000010EF0: D0C1006A 000109A9
	v_min_u32_e32 v169, 4, v169                                // 000000010EF8: 1D535284
	v_lshlrev_b32_e32 v169, 3, v169                            // 000000010EFC: 25535283
	v_lshrrev_b32_e64 v170, v169, -1                           // 000000010F00: D11000AA 000183A9
	v_accvgpr_read_b32 v171, a126                              // 000000010F08: D3D840AB 1800017E
	v_cndmask_b32_e32 v171, 0, v171, vcc                       // 000000010F10: 01575680
	v_and_b32_e32 v171, v171, v170                             // 000000010F14: 275755AB
	v_accvgpr_write_b32 a126, v171                             // 000000010F18: D3D9407E 180001AB
	v_accvgpr_read_b32 v171, a142                              // 000000010F20: D3D840AB 1800018E
	v_cndmask_b32_e32 v171, 0, v171, vcc                       // 000000010F28: 01575680
	v_and_b32_e32 v171, v171, v170                             // 000000010F2C: 275755AB
	v_accvgpr_write_b32 a142, v171                             // 000000010F30: D3D9408E 180001AB
	s_mov_b32 s54, 0x4c                                        // 000000010F38: BEB600FF 0000004C
	v_add_i32 v169, s54, v168                                  // 000000010F40: D29C00A9 00035036
	v_cmp_lt_i32_e64 vcc, v169, 4                              // 000000010F48: D0C1006A 000109A9
	v_min_u32_e32 v169, 4, v169                                // 000000010F50: 1D535284
	v_lshlrev_b32_e32 v169, 3, v169                            // 000000010F54: 25535283
	v_lshrrev_b32_e64 v170, v169, -1                           // 000000010F58: D11000AA 000183A9
	v_accvgpr_read_b32 v171, a127                              // 000000010F60: D3D840AB 1800017F
	v_cndmask_b32_e32 v171, 0, v171, vcc                       // 000000010F68: 01575680
	v_and_b32_e32 v171, v171, v170                             // 000000010F6C: 275755AB
	v_accvgpr_write_b32 a127, v171                             // 000000010F70: D3D9407F 180001AB
	v_accvgpr_read_b32 v171, a143                              // 000000010F78: D3D840AB 1800018F
	v_cndmask_b32_e32 v171, 0, v171, vcc                       // 000000010F80: 01575680
	v_and_b32_e32 v171, v171, v170                             // 000000010F84: 275755AB
	v_accvgpr_write_b32 a143, v171                             // 000000010F88: D3D9408F 180001AB
	s_mov_b32 s54, 0x80                                        // 000000010F90: BEB600FF 00000080
	v_add_i32 v169, s54, v168                                  // 000000010F98: D29C00A9 00035036
	v_cmp_lt_i32_e64 vcc, v169, 4                              // 000000010FA0: D0C1006A 000109A9
	v_min_u32_e32 v169, 4, v169                                // 000000010FA8: 1D535284
	v_lshlrev_b32_e32 v169, 3, v169                            // 000000010FAC: 25535283
	v_lshrrev_b32_e64 v170, v169, -1                           // 000000010FB0: D11000AA 000183A9
	v_accvgpr_read_b32 v171, a128                              // 000000010FB8: D3D840AB 18000180
	v_cndmask_b32_e32 v171, 0, v171, vcc                       // 000000010FC0: 01575680
	v_and_b32_e32 v171, v171, v170                             // 000000010FC4: 275755AB
	v_accvgpr_write_b32 a128, v171                             // 000000010FC8: D3D94080 180001AB
	v_accvgpr_read_b32 v171, a144                              // 000000010FD0: D3D840AB 18000190
	v_cndmask_b32_e32 v171, 0, v171, vcc                       // 000000010FD8: 01575680
	v_and_b32_e32 v171, v171, v170                             // 000000010FDC: 275755AB
	v_accvgpr_write_b32 a144, v171                             // 000000010FE0: D3D94090 180001AB
	s_mov_b32 s54, 0x84                                        // 000000010FE8: BEB600FF 00000084
	v_add_i32 v169, s54, v168                                  // 000000010FF0: D29C00A9 00035036
	v_cmp_lt_i32_e64 vcc, v169, 4                              // 000000010FF8: D0C1006A 000109A9
	v_min_u32_e32 v169, 4, v169                                // 000000011000: 1D535284
	v_lshlrev_b32_e32 v169, 3, v169                            // 000000011004: 25535283
	v_lshrrev_b32_e64 v170, v169, -1                           // 000000011008: D11000AA 000183A9
	v_accvgpr_read_b32 v171, a129                              // 000000011010: D3D840AB 18000181
	v_cndmask_b32_e32 v171, 0, v171, vcc                       // 000000011018: 01575680
	v_and_b32_e32 v171, v171, v170                             // 00000001101C: 275755AB
	v_accvgpr_write_b32 a129, v171                             // 000000011020: D3D94081 180001AB
	v_accvgpr_read_b32 v171, a145                              // 000000011028: D3D840AB 18000191
	v_cndmask_b32_e32 v171, 0, v171, vcc                       // 000000011030: 01575680
	v_and_b32_e32 v171, v171, v170                             // 000000011034: 275755AB
	v_accvgpr_write_b32 a145, v171                             // 000000011038: D3D94091 180001AB
	s_mov_b32 s54, 0x88                                        // 000000011040: BEB600FF 00000088
	v_add_i32 v169, s54, v168                                  // 000000011048: D29C00A9 00035036
	v_cmp_lt_i32_e64 vcc, v169, 4                              // 000000011050: D0C1006A 000109A9
	v_min_u32_e32 v169, 4, v169                                // 000000011058: 1D535284
	v_lshlrev_b32_e32 v169, 3, v169                            // 00000001105C: 25535283
	v_lshrrev_b32_e64 v170, v169, -1                           // 000000011060: D11000AA 000183A9
	v_accvgpr_read_b32 v171, a130                              // 000000011068: D3D840AB 18000182
	v_cndmask_b32_e32 v171, 0, v171, vcc                       // 000000011070: 01575680
	v_and_b32_e32 v171, v171, v170                             // 000000011074: 275755AB
	v_accvgpr_write_b32 a130, v171                             // 000000011078: D3D94082 180001AB
	v_accvgpr_read_b32 v171, a146                              // 000000011080: D3D840AB 18000192
	v_cndmask_b32_e32 v171, 0, v171, vcc                       // 000000011088: 01575680
	v_and_b32_e32 v171, v171, v170                             // 00000001108C: 275755AB
	v_accvgpr_write_b32 a146, v171                             // 000000011090: D3D94092 180001AB
	s_mov_b32 s54, 0x8c                                        // 000000011098: BEB600FF 0000008C
	v_add_i32 v169, s54, v168                                  // 0000000110A0: D29C00A9 00035036
	v_cmp_lt_i32_e64 vcc, v169, 4                              // 0000000110A8: D0C1006A 000109A9
	v_min_u32_e32 v169, 4, v169                                // 0000000110B0: 1D535284
	v_lshlrev_b32_e32 v169, 3, v169                            // 0000000110B4: 25535283
	v_lshrrev_b32_e64 v170, v169, -1                           // 0000000110B8: D11000AA 000183A9
	v_accvgpr_read_b32 v171, a131                              // 0000000110C0: D3D840AB 18000183
	v_cndmask_b32_e32 v171, 0, v171, vcc                       // 0000000110C8: 01575680
	v_and_b32_e32 v171, v171, v170                             // 0000000110CC: 275755AB
	v_accvgpr_write_b32 a131, v171                             // 0000000110D0: D3D94083 180001AB
	v_accvgpr_read_b32 v171, a147                              // 0000000110D8: D3D840AB 18000193
	v_cndmask_b32_e32 v171, 0, v171, vcc                       // 0000000110E0: 01575680
	v_and_b32_e32 v171, v171, v170                             // 0000000110E4: 275755AB
	v_accvgpr_write_b32 a147, v171                             // 0000000110E8: D3D94093 180001AB
	s_mov_b32 s54, 0xc0                                        // 0000000110F0: BEB600FF 000000C0
	v_add_i32 v169, s54, v168                                  // 0000000110F8: D29C00A9 00035036
	v_cmp_lt_i32_e64 vcc, v169, 4                              // 000000011100: D0C1006A 000109A9
	v_min_u32_e32 v169, 4, v169                                // 000000011108: 1D535284
	v_lshlrev_b32_e32 v169, 3, v169                            // 00000001110C: 25535283
	v_lshrrev_b32_e64 v170, v169, -1                           // 000000011110: D11000AA 000183A9
	v_accvgpr_read_b32 v171, a132                              // 000000011118: D3D840AB 18000184
	v_cndmask_b32_e32 v171, 0, v171, vcc                       // 000000011120: 01575680
	v_and_b32_e32 v171, v171, v170                             // 000000011124: 275755AB
	v_accvgpr_write_b32 a132, v171                             // 000000011128: D3D94084 180001AB
	v_accvgpr_read_b32 v171, a148                              // 000000011130: D3D840AB 18000194
	v_cndmask_b32_e32 v171, 0, v171, vcc                       // 000000011138: 01575680
	v_and_b32_e32 v171, v171, v170                             // 00000001113C: 275755AB
	v_accvgpr_write_b32 a148, v171                             // 000000011140: D3D94094 180001AB
	s_mov_b32 s54, 0xc4                                        // 000000011148: BEB600FF 000000C4
	v_add_i32 v169, s54, v168                                  // 000000011150: D29C00A9 00035036
	v_cmp_lt_i32_e64 vcc, v169, 4                              // 000000011158: D0C1006A 000109A9
	v_min_u32_e32 v169, 4, v169                                // 000000011160: 1D535284
	v_lshlrev_b32_e32 v169, 3, v169                            // 000000011164: 25535283
	v_lshrrev_b32_e64 v170, v169, -1                           // 000000011168: D11000AA 000183A9
	v_accvgpr_read_b32 v171, a133                              // 000000011170: D3D840AB 18000185
	v_cndmask_b32_e32 v171, 0, v171, vcc                       // 000000011178: 01575680
	v_and_b32_e32 v171, v171, v170                             // 00000001117C: 275755AB
	v_accvgpr_write_b32 a133, v171                             // 000000011180: D3D94085 180001AB
	v_accvgpr_read_b32 v171, a149                              // 000000011188: D3D840AB 18000195
	v_cndmask_b32_e32 v171, 0, v171, vcc                       // 000000011190: 01575680
	v_and_b32_e32 v171, v171, v170                             // 000000011194: 275755AB
	v_accvgpr_write_b32 a149, v171                             // 000000011198: D3D94095 180001AB
	s_mov_b32 s54, 0xc8                                        // 0000000111A0: BEB600FF 000000C8
	v_add_i32 v169, s54, v168                                  // 0000000111A8: D29C00A9 00035036
	v_cmp_lt_i32_e64 vcc, v169, 4                              // 0000000111B0: D0C1006A 000109A9
	v_min_u32_e32 v169, 4, v169                                // 0000000111B8: 1D535284
	v_lshlrev_b32_e32 v169, 3, v169                            // 0000000111BC: 25535283
	v_lshrrev_b32_e64 v170, v169, -1                           // 0000000111C0: D11000AA 000183A9
	v_accvgpr_read_b32 v171, a134                              // 0000000111C8: D3D840AB 18000186
	v_cndmask_b32_e32 v171, 0, v171, vcc                       // 0000000111D0: 01575680
	v_and_b32_e32 v171, v171, v170                             // 0000000111D4: 275755AB
	v_accvgpr_write_b32 a134, v171                             // 0000000111D8: D3D94086 180001AB
	v_accvgpr_read_b32 v171, a150                              // 0000000111E0: D3D840AB 18000196
	v_cndmask_b32_e32 v171, 0, v171, vcc                       // 0000000111E8: 01575680
	v_and_b32_e32 v171, v171, v170                             // 0000000111EC: 275755AB
	v_accvgpr_write_b32 a150, v171                             // 0000000111F0: D3D94096 180001AB
	s_mov_b32 s54, 0xcc                                        // 0000000111F8: BEB600FF 000000CC
	v_add_i32 v169, s54, v168                                  // 000000011200: D29C00A9 00035036
	v_cmp_lt_i32_e64 vcc, v169, 4                              // 000000011208: D0C1006A 000109A9
	v_min_u32_e32 v169, 4, v169                                // 000000011210: 1D535284
	v_lshlrev_b32_e32 v169, 3, v169                            // 000000011214: 25535283
	v_lshrrev_b32_e64 v170, v169, -1                           // 000000011218: D11000AA 000183A9
	v_accvgpr_read_b32 v171, a135                              // 000000011220: D3D840AB 18000187
	v_cndmask_b32_e32 v171, 0, v171, vcc                       // 000000011228: 01575680
	v_and_b32_e32 v171, v171, v170                             // 00000001122C: 275755AB
	v_accvgpr_write_b32 a135, v171                             // 000000011230: D3D94087 180001AB
	v_accvgpr_read_b32 v171, a151                              // 000000011238: D3D840AB 18000197
	v_cndmask_b32_e32 v171, 0, v171, vcc                       // 000000011240: 01575680
	v_and_b32_e32 v171, v171, v170                             // 000000011244: 275755AB
	v_accvgpr_write_b32 a151, v171                             // 000000011248: D3D94097 180001AB
	s_waitcnt lgkmcnt(11)                                      // 000000011250: BF8CCB7F
	v_mfma_f32_16x16x32_fp8_fp8 v[100:103], a[120:121], v[4:5], 0// 000000011254: D3F30064 0A020978
	v_mfma_f32_16x16x32_fp8_fp8 v[104:107], a[136:137], v[4:5], 0// 00000001125C: D3F30068 0A020988
	v_mfma_f32_16x16x32_fp8_fp8 v[100:103], a[122:123], v[6:7], v[100:103]// 000000011264: D3F30064 0D920D7A
	buffer_load_dwordx4 a[88:91], v234, s[16:19], 0 offen      // 00000001126C: E05C1000 808458EA
	v_mfma_f32_16x16x32_fp8_fp8 v[104:107], a[138:139], v[6:7], v[104:107]// 000000011274: D3F30068 0DA20D8A
	s_waitcnt lgkmcnt(10)                                      // 00000001127C: BF8CCA7F
	v_mfma_f32_16x16x32_fp8_fp8 v[100:103], a[124:125], v[8:9], v[100:103]// 000000011280: D3F30064 0D92117C
	v_mfma_f32_16x16x32_fp8_fp8 v[104:107], a[140:141], v[8:9], v[104:107]// 000000011288: D3F30068 0DA2118C
	v_mfma_f32_16x16x32_fp8_fp8 v[100:103], a[126:127], v[10:11], v[100:103]// 000000011290: D3F30064 0D92157E
	buffer_load_dwordx4 a[92:95], v235, s[16:19], 0 offen      // 000000011298: E05C1000 80845CEB
	v_mfma_f32_16x16x32_fp8_fp8 v[104:107], a[142:143], v[10:11], v[104:107]// 0000000112A0: D3F30068 0DA2158E
	s_waitcnt lgkmcnt(9)                                       // 0000000112A8: BF8CC97F
	v_mfma_f32_16x16x32_fp8_fp8 v[100:103], a[128:129], v[12:13], v[100:103]// 0000000112AC: D3F30064 0D921980
	v_mfma_f32_16x16x32_fp8_fp8 v[104:107], a[144:145], v[12:13], v[104:107]// 0000000112B4: D3F30068 0DA21990
	v_mfma_f32_16x16x32_fp8_fp8 v[100:103], a[130:131], v[14:15], v[100:103]// 0000000112BC: D3F30064 0D921D82
	buffer_load_dwordx4 a[96:99], v236, s[16:19], 0 offen      // 0000000112C4: E05C1000 808460EC
	v_mfma_f32_16x16x32_fp8_fp8 v[104:107], a[146:147], v[14:15], v[104:107]// 0000000112CC: D3F30068 0DA21D92
	s_waitcnt lgkmcnt(8)                                       // 0000000112D4: BF8CC87F
	v_mfma_f32_16x16x32_fp8_fp8 v[100:103], a[132:133], v[16:17], v[100:103]// 0000000112D8: D3F30064 0D922184
	v_mfma_f32_16x16x32_fp8_fp8 v[104:107], a[148:149], v[16:17], v[104:107]// 0000000112E0: D3F30068 0DA22194
	v_mfma_f32_16x16x32_fp8_fp8 v[100:103], a[134:135], v[18:19], v[100:103]// 0000000112E8: D3F30064 0D922586
	buffer_load_dwordx4 a[100:103], v237, s[16:19], 0 offen    // 0000000112F0: E05C1000 808464ED
	v_mfma_f32_16x16x32_fp8_fp8 v[104:107], a[150:151], v[18:19], v[104:107]// 0000000112F8: D3F30068 0DA22596
	s_waitcnt lgkmcnt(7)                                       // 000000011300: BF8CC77F
	v_mfma_f32_16x16x32_fp8_fp8 v[108:111], a[120:121], v[20:21], 0// 000000011304: D3F3006C 0A022978
	v_mfma_f32_16x16x32_fp8_fp8 v[112:115], a[136:137], v[20:21], 0// 00000001130C: D3F30070 0A022988
	v_mfma_f32_16x16x32_fp8_fp8 v[108:111], a[122:123], v[22:23], v[108:111]// 000000011314: D3F3006C 0DB22D7A
	buffer_load_dwordx4 a[104:107], v234, s[16:19], 0 offen offset:1024// 00000001131C: E05C1400 808468EA
	v_mfma_f32_16x16x32_fp8_fp8 v[112:115], a[138:139], v[22:23], v[112:115]// 000000011324: D3F30070 0DC22D8A
	s_waitcnt lgkmcnt(6)                                       // 00000001132C: BF8CC67F
	v_mfma_f32_16x16x32_fp8_fp8 v[108:111], a[124:125], v[24:25], v[108:111]// 000000011330: D3F3006C 0DB2317C
	v_mfma_f32_16x16x32_fp8_fp8 v[112:115], a[140:141], v[24:25], v[112:115]// 000000011338: D3F30070 0DC2318C
	v_mfma_f32_16x16x32_fp8_fp8 v[108:111], a[126:127], v[26:27], v[108:111]// 000000011340: D3F3006C 0DB2357E
	buffer_load_dwordx4 a[108:111], v235, s[16:19], 0 offen offset:1024// 000000011348: E05C1400 80846CEB
	v_mfma_f32_16x16x32_fp8_fp8 v[112:115], a[142:143], v[26:27], v[112:115]// 000000011350: D3F30070 0DC2358E
	s_waitcnt lgkmcnt(5)                                       // 000000011358: BF8CC57F
	v_mfma_f32_16x16x32_fp8_fp8 v[108:111], a[128:129], v[28:29], v[108:111]// 00000001135C: D3F3006C 0DB23980
	v_mfma_f32_16x16x32_fp8_fp8 v[112:115], a[144:145], v[28:29], v[112:115]// 000000011364: D3F30070 0DC23990
	v_mfma_f32_16x16x32_fp8_fp8 v[108:111], a[130:131], v[30:31], v[108:111]// 00000001136C: D3F3006C 0DB23D82
	buffer_load_dwordx4 a[112:115], v236, s[16:19], 0 offen offset:1024// 000000011374: E05C1400 808470EC
	v_mfma_f32_16x16x32_fp8_fp8 v[112:115], a[146:147], v[30:31], v[112:115]// 00000001137C: D3F30070 0DC23D92
	s_waitcnt lgkmcnt(4)                                       // 000000011384: BF8CC47F
	v_mfma_f32_16x16x32_fp8_fp8 v[108:111], a[132:133], v[32:33], v[108:111]// 000000011388: D3F3006C 0DB24184
	v_mfma_f32_16x16x32_fp8_fp8 v[112:115], a[148:149], v[32:33], v[112:115]// 000000011390: D3F30070 0DC24194
	v_mfma_f32_16x16x32_fp8_fp8 v[108:111], a[134:135], v[34:35], v[108:111]// 000000011398: D3F3006C 0DB24586
	buffer_load_dwordx4 a[116:119], v237, s[16:19], 0 offen offset:1024// 0000000113A0: E05C1400 808474ED
	v_mfma_f32_16x16x32_fp8_fp8 v[112:115], a[150:151], v[34:35], v[112:115]// 0000000113A8: D3F30070 0DC24596
	s_waitcnt lgkmcnt(3)                                       // 0000000113B0: BF8CC37F
	v_mfma_f32_16x16x32_fp8_fp8 v[116:119], a[120:121], v[36:37], 0// 0000000113B4: D3F30074 0A024978
	v_mfma_f32_16x16x32_fp8_fp8 v[120:123], a[136:137], v[36:37], 0// 0000000113BC: D3F30078 0A024988
	v_mfma_f32_16x16x32_fp8_fp8 v[116:119], a[122:123], v[38:39], v[116:119]// 0000000113C4: D3F30074 0DD24D7A
	v_mfma_f32_16x16x32_fp8_fp8 v[120:123], a[138:139], v[38:39], v[120:123]// 0000000113CC: D3F30078 0DE24D8A
	s_waitcnt lgkmcnt(2)                                       // 0000000113D4: BF8CC27F
	v_mfma_f32_16x16x32_fp8_fp8 v[116:119], a[124:125], v[40:41], v[116:119]// 0000000113D8: D3F30074 0DD2517C
	v_mfma_f32_16x16x32_fp8_fp8 v[120:123], a[140:141], v[40:41], v[120:123]// 0000000113E0: D3F30078 0DE2518C
	v_mfma_f32_16x16x32_fp8_fp8 v[116:119], a[126:127], v[42:43], v[116:119]// 0000000113E8: D3F30074 0DD2557E
	v_mfma_f32_16x16x32_fp8_fp8 v[120:123], a[142:143], v[42:43], v[120:123]// 0000000113F0: D3F30078 0DE2558E
	s_waitcnt lgkmcnt(1)                                       // 0000000113F8: BF8CC17F
	v_mfma_f32_16x16x32_fp8_fp8 v[116:119], a[128:129], v[44:45], v[116:119]// 0000000113FC: D3F30074 0DD25980
	v_mfma_f32_16x16x32_fp8_fp8 v[120:123], a[144:145], v[44:45], v[120:123]// 000000011404: D3F30078 0DE25990
	v_mfma_f32_16x16x32_fp8_fp8 v[116:119], a[130:131], v[46:47], v[116:119]// 00000001140C: D3F30074 0DD25D82
	v_mfma_f32_16x16x32_fp8_fp8 v[120:123], a[146:147], v[46:47], v[120:123]// 000000011414: D3F30078 0DE25D92
	s_waitcnt lgkmcnt(0)                                       // 00000001141C: BF8CC07F
	v_mfma_f32_16x16x32_fp8_fp8 v[116:119], a[132:133], v[48:49], v[116:119]// 000000011420: D3F30074 0DD26184
	v_mfma_f32_16x16x32_fp8_fp8 v[120:123], a[148:149], v[48:49], v[120:123]// 000000011428: D3F30078 0DE26194
	v_mfma_f32_16x16x32_fp8_fp8 v[116:119], a[134:135], v[50:51], v[116:119]// 000000011430: D3F30074 0DD26586
	v_mfma_f32_16x16x32_fp8_fp8 v[120:123], a[150:151], v[50:51], v[120:123]// 000000011438: D3F30078 0DE26596
	s_addk_i32 s64, 0x100                                      // 000000011440: B7400100
	s_branch label_20B0                                        // 000000011444: BF82E51E

0000000000011448 <label_3B92>:
	v_pk_mul_f32 v[124:125], v[200:201], v[124:125]            // 000000011448: D3B1407C 1802F9C8
	v_pk_mul_f32 v[126:127], v[200:201], v[126:127]            // 000000011450: D3B1407E 1802FDC8
	v_pk_mul_f32 v[128:129], v[200:201], v[128:129]            // 000000011458: D3B14080 180301C8
	v_pk_mul_f32 v[130:131], v[200:201], v[130:131]            // 000000011460: D3B14082 180305C8
	v_pk_mul_f32 v[132:133], v[202:203], v[132:133]            // 000000011468: D3B14084 180309CA
	v_pk_mul_f32 v[134:135], v[202:203], v[134:135]            // 000000011470: D3B14086 18030DCA
	v_pk_mul_f32 v[136:137], v[202:203], v[136:137]            // 000000011478: D3B14088 180311CA
	v_pk_mul_f32 v[138:139], v[202:203], v[138:139]            // 000000011480: D3B1408A 180315CA
	v_pk_mul_f32 v[140:141], v[204:205], v[140:141]            // 000000011488: D3B1408C 180319CC
	v_pk_mul_f32 v[142:143], v[204:205], v[142:143]            // 000000011490: D3B1408E 18031DCC
	v_pk_mul_f32 v[144:145], v[204:205], v[144:145]            // 000000011498: D3B14090 180321CC
	v_pk_mul_f32 v[146:147], v[204:205], v[146:147]            // 0000000114A0: D3B14092 180325CC
	v_add_f32_dpp v210, v210, v210 row_ror:8 row_mask:0xf bank_mask:0xf// 0000000114A8: 03A5A4FA FF0128D2
	ds_bpermute_b32 v172, v212, v206                           // 0000000114B0: D87E0000 AC00CED4
	ds_bpermute_b32 v173, v213, v206                           // 0000000114B8: D87E0000 AD00CED5
	ds_bpermute_b32 v174, v214, v206                           // 0000000114C0: D87E0000 AE00CED6
	ds_bpermute_b32 v175, v212, v208                           // 0000000114C8: D87E0000 AF00D0D4
	ds_bpermute_b32 v176, v213, v208                           // 0000000114D0: D87E0000 B000D0D5
	ds_bpermute_b32 v177, v214, v208                           // 0000000114D8: D87E0000 B100D0D6
	ds_bpermute_b32 v178, v212, v210                           // 0000000114E0: D87E0000 B200D2D4
	ds_bpermute_b32 v179, v213, v210                           // 0000000114E8: D87E0000 B300D2D5
	ds_bpermute_b32 v180, v214, v210                           // 0000000114F0: D87E0000 B400D2D6
	s_waitcnt lgkmcnt(0)                                       // 0000000114F8: BF8CC07F
	v_add_f32_e32 v206, v172, v206                             // 0000000114FC: 039D9DAC
	v_add_f32_e32 v206, v173, v206                             // 000000011500: 039D9DAD
	v_add_f32_e32 v206, v174, v206                             // 000000011504: 039D9DAE
	v_add_f32_e32 v207, v175, v208                             // 000000011508: 039FA1AF
	v_add_f32_e32 v207, v176, v207                             // 00000001150C: 039F9FB0
	v_add_f32_e32 v207, v177, v207                             // 000000011510: 039F9FB1
	v_add_f32_e32 v208, v178, v210                             // 000000011514: 03A1A5B2
	v_add_f32_e32 v208, v179, v208                             // 000000011518: 03A1A1B3
	v_add_f32_e32 v208, v180, v208                             // 00000001151C: 03A1A1B4
	ds_write_b128 v252, v[206:209]                             // 000000011520: D9BE0000 0000CEFC
	v_pk_mul_f32 v[100:101], v[158:159], v[100:101]            // 000000011528: D3B14064 1802C99E
	v_pk_mul_f32 v[102:103], v[158:159], v[102:103]            // 000000011530: D3B14066 1802CD9E
	v_pk_mul_f32 v[104:105], v[158:159], v[104:105]            // 000000011538: D3B14068 1802D19E
	v_pk_mul_f32 v[106:107], v[158:159], v[106:107]            // 000000011540: D3B1406A 1802D59E
	v_pk_mul_f32 v[108:109], v[160:161], v[108:109]            // 000000011548: D3B1406C 1802D9A0
	v_pk_mul_f32 v[110:111], v[160:161], v[110:111]            // 000000011550: D3B1406E 1802DDA0
	v_pk_mul_f32 v[112:113], v[160:161], v[112:113]            // 000000011558: D3B14070 1802E1A0
	v_pk_mul_f32 v[114:115], v[160:161], v[114:115]            // 000000011560: D3B14072 1802E5A0
	v_pk_mul_f32 v[116:117], v[162:163], v[116:117]            // 000000011568: D3B14074 1802E9A2
	v_pk_mul_f32 v[118:119], v[162:163], v[118:119]            // 000000011570: D3B14076 1802EDA2
	v_pk_mul_f32 v[120:121], v[162:163], v[120:121]            // 000000011578: D3B14078 1802F1A2
	v_pk_mul_f32 v[122:123], v[162:163], v[122:123]            // 000000011580: D3B1407A 1802F5A2
	s_waitcnt lgkmcnt(0)                                       // 000000011588: BF8CC07F
	s_barrier                                                  // 00000001158C: BF8A0000
	ds_read_b128 v[172:175], v253                              // 000000011590: D9FE0000 AC0000FD
	ds_read_b128 v[176:179], v253 offset:256                   // 000000011598: D9FE0100 B00000FD
	ds_read_b128 v[180:183], v253 offset:512                   // 0000000115A0: D9FE0200 B40000FD
	ds_read_b128 v[184:187], v253 offset:768                   // 0000000115A8: D9FE0300 B80000FD
	v_pk_add_f32 v[124:125], v[124:125], v[100:101]            // 0000000115B0: D3B2407C 1802C97C
	v_pk_add_f32 v[126:127], v[126:127], v[102:103]            // 0000000115B8: D3B2407E 1802CD7E
	v_pk_add_f32 v[128:129], v[128:129], v[104:105]            // 0000000115C0: D3B24080 1802D180
	v_pk_add_f32 v[130:131], v[130:131], v[106:107]            // 0000000115C8: D3B24082 1802D582
	v_pk_add_f32 v[132:133], v[132:133], v[108:109]            // 0000000115D0: D3B24084 1802D984
	v_pk_add_f32 v[134:135], v[134:135], v[110:111]            // 0000000115D8: D3B24086 1802DD86
	v_pk_add_f32 v[136:137], v[136:137], v[112:113]            // 0000000115E0: D3B24088 1802E188
	v_pk_add_f32 v[138:139], v[138:139], v[114:115]            // 0000000115E8: D3B2408A 1802E58A
	v_pk_add_f32 v[140:141], v[140:141], v[116:117]            // 0000000115F0: D3B2408C 1802E98C
	v_pk_add_f32 v[142:143], v[142:143], v[118:119]            // 0000000115F8: D3B2408E 1802ED8E
	v_pk_add_f32 v[144:145], v[144:145], v[120:121]            // 000000011600: D3B24090 1802F190
	v_pk_add_f32 v[146:147], v[146:147], v[122:123]            // 000000011608: D3B24092 1802F592
	s_waitcnt lgkmcnt(0)                                       // 000000011610: BF8CC07F
	v_mov_b64_e32 v[206:207], 0                                // 000000011614: 7F9C7080
	v_mov_b32_e32 v208, 0                                      // 000000011618: 7FA00280
	v_add_f32_e32 v206, v172, v206                             // 00000001161C: 039D9DAC
	v_add_f32_e32 v207, v173, v207                             // 000000011620: 039F9FAD
	v_add_f32_e32 v208, v174, v208                             // 000000011624: 03A1A1AE
	v_add_f32_e32 v206, v176, v206                             // 000000011628: 039D9DB0
	v_add_f32_e32 v207, v177, v207                             // 00000001162C: 039F9FB1
	v_add_f32_e32 v208, v178, v208                             // 000000011630: 03A1A1B2
	v_add_f32_e32 v206, v180, v206                             // 000000011634: 039D9DB4
	v_add_f32_e32 v207, v181, v207                             // 000000011638: 039F9FB5
	v_add_f32_e32 v208, v182, v208                             // 00000001163C: 03A1A1B6
	v_add_f32_e32 v206, v184, v206                             // 000000011640: 039D9DB8
	v_add_f32_e32 v207, v185, v207                             // 000000011644: 039F9FB9
	v_add_f32_e32 v208, v186, v208                             // 000000011648: 03A1A1BA
	v_rcp_f32_e32 v172, v206                                   // 00000001164C: 7F5845CE
	v_cmp_eq_u32_e64 s[54:55], 0, v206                         // 000000011650: D0CA0036 00039C80
	s_nop 0                                                    // 000000011658: BF800000
	v_cndmask_b32_e64 v172, v172, 0, s[54:55]                  // 00000001165C: D10000AC 00D901AC
	v_rcp_f32_e32 v173, v207                                   // 000000011664: 7F5A45CF
	v_cmp_eq_u32_e64 s[54:55], 0, v207                         // 000000011668: D0CA0036 00039E80
	s_nop 0                                                    // 000000011670: BF800000
	v_cndmask_b32_e64 v173, v173, 0, s[54:55]                  // 000000011674: D10000AD 00D901AD
	v_rcp_f32_e32 v174, v208                                   // 00000001167C: 7F5C45D0
	v_cmp_eq_u32_e64 s[54:55], 0, v208                         // 000000011680: D0CA0036 0003A080
	s_nop 0                                                    // 000000011688: BF800000
	v_cndmask_b32_e64 v174, v174, 0, s[54:55]                  // 00000001168C: D10000AE 00D901AE
	v_mul_f32_e32 v124, v172, v124                             // 000000011694: 0AF8F9AC
	v_mul_f32_e32 v125, v172, v125                             // 000000011698: 0AFAFBAC
	v_mul_f32_e32 v126, v172, v126                             // 00000001169C: 0AFCFDAC
	v_mul_f32_e32 v127, v172, v127                             // 0000000116A0: 0AFEFFAC
	v_mul_f32_e32 v128, v172, v128                             // 0000000116A4: 0B0101AC
	v_mul_f32_e32 v129, v172, v129                             // 0000000116A8: 0B0303AC
	v_mul_f32_e32 v130, v172, v130                             // 0000000116AC: 0B0505AC
	v_mul_f32_e32 v131, v172, v131                             // 0000000116B0: 0B0707AC
	v_mul_f32_e32 v132, v173, v132                             // 0000000116B4: 0B0909AD
	v_mul_f32_e32 v133, v173, v133                             // 0000000116B8: 0B0B0BAD
	v_mul_f32_e32 v134, v173, v134                             // 0000000116BC: 0B0D0DAD
	v_mul_f32_e32 v135, v173, v135                             // 0000000116C0: 0B0F0FAD
	v_mul_f32_e32 v136, v173, v136                             // 0000000116C4: 0B1111AD
	v_mul_f32_e32 v137, v173, v137                             // 0000000116C8: 0B1313AD
	v_mul_f32_e32 v138, v173, v138                             // 0000000116CC: 0B1515AD
	v_mul_f32_e32 v139, v173, v139                             // 0000000116D0: 0B1717AD
	v_mul_f32_e32 v140, v174, v140                             // 0000000116D4: 0B1919AE
	v_mul_f32_e32 v141, v174, v141                             // 0000000116D8: 0B1B1BAE
	v_mul_f32_e32 v142, v174, v142                             // 0000000116DC: 0B1D1DAE
	v_mul_f32_e32 v143, v174, v143                             // 0000000116E0: 0B1F1FAE
	v_mul_f32_e32 v144, v174, v144                             // 0000000116E4: 0B2121AE
	v_mul_f32_e32 v145, v174, v145                             // 0000000116E8: 0B2323AE
	v_mul_f32_e32 v146, v174, v146                             // 0000000116EC: 0B2525AE
	v_mul_f32_e32 v147, v174, v147                             // 0000000116F0: 0B2727AE
	s_cmp_eq_i32 s73, -1                                       // 0000000116F4: BF00C149
	s_cbranch_scc0 label_3D05                                  // 0000000116F8: BF8400C6
	v_cmp_u_f32_e64 s[98:99], v124, v124                       // 0000000116FC: D0480062 0002F97C
	v_add3_u32 v215, v124, v218, 1                             // 000000011704: D1FF00D7 0207B57C
	v_cndmask_b32_e64 v168, v215, v217, s[98:99]               // 00000001170C: D10000A8 018BB3D7
	v_cmp_u_f32_e64 s[98:99], v125, v125                       // 000000011714: D0480062 0002FB7D
	v_add3_u32 v215, v125, v218, 1                             // 00000001171C: D1FF00D7 0207B57D
	v_cndmask_b32_e64 v169, v215, v217, s[98:99]               // 000000011724: D10000A9 018BB3D7
	v_perm_b32 v124, v169, v168, s56                           // 00000001172C: D1ED007C 00E351A9
	v_cmp_u_f32_e64 s[98:99], v126, v126                       // 000000011734: D0480062 0002FD7E
	v_add3_u32 v215, v126, v218, 1                             // 00000001173C: D1FF00D7 0207B57E
	v_cndmask_b32_e64 v168, v215, v217, s[98:99]               // 000000011744: D10000A8 018BB3D7
	v_cmp_u_f32_e64 s[98:99], v127, v127                       // 00000001174C: D0480062 0002FF7F
	v_add3_u32 v215, v127, v218, 1                             // 000000011754: D1FF00D7 0207B57F
	v_cndmask_b32_e64 v169, v215, v217, s[98:99]               // 00000001175C: D10000A9 018BB3D7
	v_perm_b32 v125, v169, v168, s56                           // 000000011764: D1ED007D 00E351A9
	v_cmp_u_f32_e64 s[98:99], v128, v128                       // 00000001176C: D0480062 00030180
	v_add3_u32 v215, v128, v218, 1                             // 000000011774: D1FF00D7 0207B580
	v_cndmask_b32_e64 v168, v215, v217, s[98:99]               // 00000001177C: D10000A8 018BB3D7
	v_cmp_u_f32_e64 s[98:99], v129, v129                       // 000000011784: D0480062 00030381
	v_add3_u32 v215, v129, v218, 1                             // 00000001178C: D1FF00D7 0207B581
	v_cndmask_b32_e64 v169, v215, v217, s[98:99]               // 000000011794: D10000A9 018BB3D7
	v_perm_b32 v126, v169, v168, s56                           // 00000001179C: D1ED007E 00E351A9
	v_cmp_u_f32_e64 s[98:99], v130, v130                       // 0000000117A4: D0480062 00030582
	v_add3_u32 v215, v130, v218, 1                             // 0000000117AC: D1FF00D7 0207B582
	v_cndmask_b32_e64 v168, v215, v217, s[98:99]               // 0000000117B4: D10000A8 018BB3D7
	v_cmp_u_f32_e64 s[98:99], v131, v131                       // 0000000117BC: D0480062 00030783
	v_add3_u32 v215, v131, v218, 1                             // 0000000117C4: D1FF00D7 0207B583
	v_cndmask_b32_e64 v169, v215, v217, s[98:99]               // 0000000117CC: D10000A9 018BB3D7
	v_perm_b32 v127, v169, v168, s56                           // 0000000117D4: D1ED007F 00E351A9
	v_cmp_u_f32_e64 s[98:99], v132, v132                       // 0000000117DC: D0480062 00030984
	v_add3_u32 v215, v132, v218, 1                             // 0000000117E4: D1FF00D7 0207B584
	v_cndmask_b32_e64 v168, v215, v217, s[98:99]               // 0000000117EC: D10000A8 018BB3D7
	v_cmp_u_f32_e64 s[98:99], v133, v133                       // 0000000117F4: D0480062 00030B85
	v_add3_u32 v215, v133, v218, 1                             // 0000000117FC: D1FF00D7 0207B585
	v_cndmask_b32_e64 v169, v215, v217, s[98:99]               // 000000011804: D10000A9 018BB3D7
	v_perm_b32 v128, v169, v168, s56                           // 00000001180C: D1ED0080 00E351A9
	v_cmp_u_f32_e64 s[98:99], v134, v134                       // 000000011814: D0480062 00030D86
	v_add3_u32 v215, v134, v218, 1                             // 00000001181C: D1FF00D7 0207B586
	v_cndmask_b32_e64 v168, v215, v217, s[98:99]               // 000000011824: D10000A8 018BB3D7
	v_cmp_u_f32_e64 s[98:99], v135, v135                       // 00000001182C: D0480062 00030F87
	v_add3_u32 v215, v135, v218, 1                             // 000000011834: D1FF00D7 0207B587
	v_cndmask_b32_e64 v169, v215, v217, s[98:99]               // 00000001183C: D10000A9 018BB3D7
	v_perm_b32 v129, v169, v168, s56                           // 000000011844: D1ED0081 00E351A9
	v_cmp_u_f32_e64 s[98:99], v136, v136                       // 00000001184C: D0480062 00031188
	v_add3_u32 v215, v136, v218, 1                             // 000000011854: D1FF00D7 0207B588
	v_cndmask_b32_e64 v168, v215, v217, s[98:99]               // 00000001185C: D10000A8 018BB3D7
	v_cmp_u_f32_e64 s[98:99], v137, v137                       // 000000011864: D0480062 00031389
	v_add3_u32 v215, v137, v218, 1                             // 00000001186C: D1FF00D7 0207B589
	v_cndmask_b32_e64 v169, v215, v217, s[98:99]               // 000000011874: D10000A9 018BB3D7
	v_perm_b32 v130, v169, v168, s56                           // 00000001187C: D1ED0082 00E351A9
	v_cmp_u_f32_e64 s[98:99], v138, v138                       // 000000011884: D0480062 0003158A
	v_add3_u32 v215, v138, v218, 1                             // 00000001188C: D1FF00D7 0207B58A
	v_cndmask_b32_e64 v168, v215, v217, s[98:99]               // 000000011894: D10000A8 018BB3D7
	v_cmp_u_f32_e64 s[98:99], v139, v139                       // 00000001189C: D0480062 0003178B
	v_add3_u32 v215, v139, v218, 1                             // 0000000118A4: D1FF00D7 0207B58B
	v_cndmask_b32_e64 v169, v215, v217, s[98:99]               // 0000000118AC: D10000A9 018BB3D7
	v_perm_b32 v131, v169, v168, s56                           // 0000000118B4: D1ED0083 00E351A9
	v_cmp_u_f32_e64 s[98:99], v140, v140                       // 0000000118BC: D0480062 0003198C
	v_add3_u32 v215, v140, v218, 1                             // 0000000118C4: D1FF00D7 0207B58C
	v_cndmask_b32_e64 v168, v215, v217, s[98:99]               // 0000000118CC: D10000A8 018BB3D7
	v_cmp_u_f32_e64 s[98:99], v141, v141                       // 0000000118D4: D0480062 00031B8D
	v_add3_u32 v215, v141, v218, 1                             // 0000000118DC: D1FF00D7 0207B58D
	v_cndmask_b32_e64 v169, v215, v217, s[98:99]               // 0000000118E4: D10000A9 018BB3D7
	v_perm_b32 v132, v169, v168, s56                           // 0000000118EC: D1ED0084 00E351A9
	v_cmp_u_f32_e64 s[98:99], v142, v142                       // 0000000118F4: D0480062 00031D8E
	v_add3_u32 v215, v142, v218, 1                             // 0000000118FC: D1FF00D7 0207B58E
	v_cndmask_b32_e64 v168, v215, v217, s[98:99]               // 000000011904: D10000A8 018BB3D7
	v_cmp_u_f32_e64 s[98:99], v143, v143                       // 00000001190C: D0480062 00031F8F
	v_add3_u32 v215, v143, v218, 1                             // 000000011914: D1FF00D7 0207B58F
	v_cndmask_b32_e64 v169, v215, v217, s[98:99]               // 00000001191C: D10000A9 018BB3D7
	v_perm_b32 v133, v169, v168, s56                           // 000000011924: D1ED0085 00E351A9
	v_cmp_u_f32_e64 s[98:99], v144, v144                       // 00000001192C: D0480062 00032190
	v_add3_u32 v215, v144, v218, 1                             // 000000011934: D1FF00D7 0207B590
	v_cndmask_b32_e64 v168, v215, v217, s[98:99]               // 00000001193C: D10000A8 018BB3D7
	v_cmp_u_f32_e64 s[98:99], v145, v145                       // 000000011944: D0480062 00032391
	v_add3_u32 v215, v145, v218, 1                             // 00000001194C: D1FF00D7 0207B591
	v_cndmask_b32_e64 v169, v215, v217, s[98:99]               // 000000011954: D10000A9 018BB3D7
	v_perm_b32 v134, v169, v168, s56                           // 00000001195C: D1ED0086 00E351A9
	v_cmp_u_f32_e64 s[98:99], v146, v146                       // 000000011964: D0480062 00032592
	v_add3_u32 v215, v146, v218, 1                             // 00000001196C: D1FF00D7 0207B592
	v_cndmask_b32_e64 v168, v215, v217, s[98:99]               // 000000011974: D10000A8 018BB3D7
	v_cmp_u_f32_e64 s[98:99], v147, v147                       // 00000001197C: D0480062 00032793
	v_add3_u32 v215, v147, v218, 1                             // 000000011984: D1FF00D7 0207B593
	v_cndmask_b32_e64 v169, v215, v217, s[98:99]               // 00000001198C: D10000A9 018BB3D7
	v_perm_b32 v135, v169, v168, s56                           // 000000011994: D1ED0087 00E351A9
	ds_write_b64 v250, v[124:125] offset:8192                  // 00000001199C: D89A2000 00007CFA
	ds_write_b64 v250, v[126:127] offset:10496                 // 0000000119A4: D89A2900 00007EFA
	ds_write_b64 v250, v[128:129] offset:12800                 // 0000000119AC: D89A3200 000080FA
	ds_write_b64 v250, v[130:131] offset:15104                 // 0000000119B4: D89A3B00 000082FA
	ds_write_b64 v250, v[132:133] offset:17408                 // 0000000119BC: D89A4400 000084FA
	ds_write_b64 v250, v[134:135] offset:19712                 // 0000000119C4: D89A4D00 000086FA
	s_waitcnt lgkmcnt(0)                                       // 0000000119CC: BF8CC07F
	s_barrier                                                  // 0000000119D0: BF8A0000
	ds_read_b128 v[124:127], v251 offset:8192                  // 0000000119D4: D9FE2000 7C0000FB
	ds_read_b128 v[128:131], v251 offset:12800                 // 0000000119DC: D9FE3200 800000FB
	ds_read_b128 v[132:135], v251 offset:17408                 // 0000000119E4: D9FE4400 840000FB
	s_waitcnt lgkmcnt(2)                                       // 0000000119EC: BF8CC27F
	buffer_store_dwordx4 v[124:127], v229, s[4:7], 0 offen     // 0000000119F0: E07C1000 80017CE5
	s_waitcnt lgkmcnt(1)                                       // 0000000119F8: BF8CC17F
	buffer_store_dwordx4 v[128:131], v230, s[4:7], 0 offen     // 0000000119FC: E07C1000 800180E6
	s_waitcnt lgkmcnt(0)                                       // 000000011A04: BF8CC07F
	buffer_store_dwordx4 v[132:135], v231, s[4:7], 0 offen     // 000000011A08: E07C1000 800184E7
	s_branch label_3D31                                        // 000000011A10: BF82002C

0000000000011a14 <label_3D05>:
	v_rcp_f32_e32 v171, 0x3fb8aa3b                             // 000000011A14: 7F5644FF 3FB8AA3B
	v_log_f32_e32 v168, v206                                   // 000000011A1C: 7F5043CE
	v_mul_f32_e64 v169, v194, s46                              // 000000011A20: D10500A9 00005DC2
	v_add_f32_e32 v1, v168, v169                               // 000000011A28: 020353A8
	v_mul_f32_e32 v1, v1, v171                                 // 000000011A2C: 0A035701
	buffer_store_dword v1, v240, s[32:35], 0 offen             // 000000011A30: E0701000 800801F0
	v_log_f32_e32 v168, v207                                   // 000000011A38: 7F5043CF
	v_mul_f32_e64 v169, v195, s46                              // 000000011A3C: D10500A9 00005DC3
	v_add_f32_e32 v2, v168, v169                               // 000000011A44: 020553A8
	v_mul_f32_e32 v2, v2, v171                                 // 000000011A48: 0A055702
	buffer_store_dword v2, v241, s[32:35], 0 offen             // 000000011A4C: E0701000 800802F1
	v_log_f32_e32 v168, v208                                   // 000000011A54: 7F5043D0
	v_mul_f32_e64 v169, v196, s46                              // 000000011A58: D10500A9 00005DC4
	v_add_f32_e32 v3, v168, v169                               // 000000011A60: 020753A8
	v_mul_f32_e32 v3, v3, v171                                 // 000000011A64: 0A075703
	buffer_store_dword v3, v242, s[32:35], 0 offen             // 000000011A68: E0701000 800803F2
	v_add_u32_e32 v168, 0, v243                                // 000000011A70: 6951E680
	buffer_store_dwordx4 v[124:127], v168, s[28:31], 0 offen   // 000000011A74: E07C1000 80077CA8
	v_add_u32_e32 v168, 0x100, v243                            // 000000011A7C: 6951E6FF 00000100
	buffer_store_dwordx4 v[128:131], v168, s[28:31], 0 offen   // 000000011A84: E07C1000 800780A8
	v_add_u32_e32 v168, 0, v244                                // 000000011A8C: 6951E880
	buffer_store_dwordx4 v[132:135], v168, s[28:31], 0 offen   // 000000011A90: E07C1000 800784A8
	v_add_u32_e32 v168, 0x100, v244                            // 000000011A98: 6951E8FF 00000100
	buffer_store_dwordx4 v[136:139], v168, s[28:31], 0 offen   // 000000011AA0: E07C1000 800788A8
	v_add_u32_e32 v168, 0, v245                                // 000000011AA8: 6951EA80
	buffer_store_dwordx4 v[140:143], v168, s[28:31], 0 offen   // 000000011AAC: E07C1000 80078CA8
	v_add_u32_e32 v168, 0x100, v245                            // 000000011AB4: 6951EAFF 00000100
	buffer_store_dwordx4 v[144:147], v168, s[28:31], 0 offen   // 000000011ABC: E07C1000 800790A8

0000000000011ac4 <label_3D31>:
	s_addk_i32 s80, 0x1                                        // 000000011AC4: B7500001
	s_branch label_0213                                        // 000000011AC8: BF82C4E0

0000000000011acc <label_3D33>:
	s_waitcnt vmcnt(0) expcnt(0) lgkmcnt(0)                    // 000000011ACC: BF8C0000
	s_endpgm                                                   // 000000011AD0: BF810000
